;; amdgpu-corpus repo=ROCm/rocFFT kind=compiled arch=gfx1030 opt=O3
	.text
	.amdgcn_target "amdgcn-amd-amdhsa--gfx1030"
	.amdhsa_code_object_version 6
	.protected	bluestein_single_fwd_len2880_dim1_sp_op_CI_CI ; -- Begin function bluestein_single_fwd_len2880_dim1_sp_op_CI_CI
	.globl	bluestein_single_fwd_len2880_dim1_sp_op_CI_CI
	.p2align	8
	.type	bluestein_single_fwd_len2880_dim1_sp_op_CI_CI,@function
bluestein_single_fwd_len2880_dim1_sp_op_CI_CI: ; @bluestein_single_fwd_len2880_dim1_sp_op_CI_CI
; %bb.0:
	s_load_dwordx4 s[16:19], s[4:5], 0x28
	v_mul_u32_u24_e32 v1, 0x2ab, v0
	s_mov_b64 s[22:23], s[2:3]
	s_mov_b64 s[20:21], s[0:1]
	v_mov_b32_e32 v3, 0
	s_add_u32 s20, s20, s7
	v_lshrrev_b32_e32 v1, 16, v1
	s_addc_u32 s21, s21, 0
	s_mov_b32 s0, exec_lo
	v_add_nc_u32_e32 v2, s6, v1
	s_waitcnt lgkmcnt(0)
	v_cmpx_gt_u64_e64 s[16:17], v[2:3]
	s_cbranch_execz .LBB0_2
; %bb.1:
	v_mul_lo_u16 v1, 0x60, v1
	s_clause 0x1
	s_load_dwordx4 s[0:3], s[4:5], 0x18
	s_load_dwordx4 s[8:11], s[4:5], 0x0
	v_mov_b32_e32 v10, v2
	v_sub_nc_u16 v83, v0, v1
	v_and_b32_e32 v0, 0xffff, v83
	v_mov_b32_e32 v137, v0
	v_or_b32_e32 v156, 0x480, v0
	v_or_b32_e32 v6, 0x900, v0
	v_lshlrev_b32_e32 v140, 3, v0
	s_waitcnt lgkmcnt(0)
	s_load_dwordx4 s[12:15], s[0:1], 0x0
	v_or_b32_e32 v153, 0x300, v137
	v_lshlrev_b32_e32 v11, 3, v156
	v_lshlrev_b32_e32 v16, 3, v6
	global_load_dwordx2 v[73:74], v140, s[8:9]
	v_mov_b32_e32 v14, v6
	v_lshlrev_b32_e32 v17, 3, v153
	buffer_store_dword v11, off, s[20:23], 0 offset:276 ; 4-byte Folded Spill
	buffer_store_dword v16, off, s[20:23], 0 offset:272 ; 4-byte Folded Spill
	v_add_co_u32 v26, s0, s8, v140
	buffer_store_dword v17, off, s[20:23], 0 offset:264 ; 4-byte Folded Spill
	buffer_store_dword v10, off, s[20:23], 0 offset:8 ; 4-byte Folded Spill
	;; [unrolled: 1-line block ×3, first 2 shown]
	buffer_store_dword v14, off, s[20:23], 0 ; 4-byte Folded Spill
	v_add_co_ci_u32_e64 v27, null, s9, 0, s0
	s_add_u32 s6, s8, 0x5a00
	s_addc_u32 s7, s9, 0
	v_or_b32_e32 v46, 0x780, v137
	v_or_b32_e32 v136, 0x180, v137
	s_waitcnt lgkmcnt(0)
	v_mad_u64_u32 v[0:1], null, s14, v2, 0
	v_mad_u64_u32 v[2:3], null, s12, v137, 0
	;; [unrolled: 1-line block ×5, first 2 shown]
	s_mul_i32 s0, s13, 0x900
	s_mul_hi_u32 s14, s12, 0x900
	s_mul_i32 s1, s12, 0x900
	s_add_i32 s0, s14, s0
	s_mul_i32 s14, s13, 0x1200
	s_mul_hi_u32 s16, s12, 0x1200
	v_or_b32_e32 v42, 0xa80, v137
	s_add_i32 s14, s16, s14
	v_or_b32_e32 v49, 0x600, v137
	v_lshlrev_b32_e32 v43, 3, v46
	v_lshlrev_b32_e32 v44, 3, v136
	;; [unrolled: 1-line block ×3, first 2 shown]
	v_mov_b32_e32 v52, v42
	v_lshlrev_b32_e32 v86, 3, v49
	v_add_nc_u32_e32 v162, 0x3800, v140
	v_add_nc_u32_e32 v184, 0x1c00, v140
	;; [unrolled: 1-line block ×9, first 2 shown]
	v_mov_b32_e32 v166, v137
	v_mov_b32_e32 v226, v163
	s_clause 0x2
	global_load_dwordx2 v[57:58], v16, s[8:9]
	global_load_dwordx2 v[47:48], v17, s[8:9]
	;; [unrolled: 1-line block ×3, first 2 shown]
	v_mad_u64_u32 v[10:11], null, s15, v10, v[1:2]
	v_mad_u64_u32 v[11:12], null, s13, v137, v[3:4]
	;; [unrolled: 1-line block ×4, first 2 shown]
	v_mov_b32_e32 v1, v10
	v_mad_u64_u32 v[14:15], null, s13, v153, v[9:10]
	v_mov_b32_e32 v3, v11
	v_mov_b32_e32 v5, v12
	v_lshlrev_b64 v[0:1], 3, v[0:1]
	v_mov_b32_e32 v7, v13
	s_mul_i32 s15, s12, 0x1200
	v_lshlrev_b64 v[2:3], 3, v[2:3]
	v_mov_b32_e32 v9, v14
	v_lshlrev_b64 v[4:5], 3, v[4:5]
	v_add_co_u32 v24, vcc_lo, s18, v0
	v_add_co_ci_u32_e32 v25, vcc_lo, s19, v1, vcc_lo
	v_lshlrev_b64 v[6:7], 3, v[6:7]
	v_lshlrev_b64 v[0:1], 3, v[8:9]
	v_add_co_u32 v8, vcc_lo, v24, v2
	v_add_co_ci_u32_e32 v9, vcc_lo, v25, v3, vcc_lo
	v_add_co_u32 v2, vcc_lo, v24, v4
	v_add_co_ci_u32_e32 v3, vcc_lo, v25, v5, vcc_lo
	;; [unrolled: 2-line block ×5, first 2 shown]
	s_clause 0x3
	global_load_dwordx2 v[6:7], v[8:9], off
	global_load_dwordx2 v[2:3], v[2:3], off
	;; [unrolled: 1-line block ×4, first 2 shown]
	v_add_co_u32 v10, vcc_lo, v8, s1
	v_add_co_ci_u32_e32 v11, vcc_lo, s0, v9, vcc_lo
	global_load_dwordx2 v[61:62], v[14:15], off offset:256
	global_load_dwordx2 v[8:9], v[10:11], off
	v_add_co_u32 v18, vcc_lo, 0x1000, v26
	v_add_co_ci_u32_e32 v19, vcc_lo, 0, v27, vcc_lo
	v_add_co_u32 v16, vcc_lo, 0x1800, v26
	v_add_co_ci_u32_e32 v17, vcc_lo, 0, v27, vcc_lo
	;; [unrolled: 2-line block ×5, first 2 shown]
	s_clause 0x1
	global_load_dwordx2 v[92:93], v[18:19], off offset:512
	global_load_dwordx2 v[55:56], v[16:17], off offset:768
	global_load_dwordx2 v[10:11], v[12:13], off
	v_add_co_u32 v28, vcc_lo, v22, s15
	v_add_co_ci_u32_e32 v29, vcc_lo, s14, v23, vcc_lo
	global_load_dwordx2 v[12:13], v[22:23], off
	v_add_co_u32 v22, vcc_lo, 0x3000, v26
	v_add_co_ci_u32_e32 v23, vcc_lo, 0, v27, vcc_lo
	global_load_dwordx2 v[69:70], v[20:21], off offset:1280
	global_load_dwordx2 v[30:31], v[28:29], off
	v_add_co_u32 v28, vcc_lo, v28, s1
	v_add_co_ci_u32_e32 v29, vcc_lo, s0, v29, vcc_lo
	v_add_co_u32 v32, vcc_lo, 0x3800, v26
	v_add_co_ci_u32_e32 v33, vcc_lo, 0, v27, vcc_lo
	global_load_dwordx2 v[96:97], v[22:23], off offset:1536
	global_load_dwordx2 v[34:35], v[28:29], off
	v_add_co_u32 v28, vcc_lo, v28, s1
	v_add_co_ci_u32_e32 v29, vcc_lo, s0, v29, vcc_lo
	;; [unrolled: 6-line block ×3, first 2 shown]
	v_add_co_u32 v42, vcc_lo, 0x2000, v26
	global_load_dwordx2 v[63:64], v[36:37], off offset:256
	global_load_dwordx2 v[40:41], v[28:29], off
	buffer_store_dword v43, off, s[20:23], 0 offset:280 ; 4-byte Folded Spill
	buffer_store_dword v44, off, s[20:23], 0 offset:284 ; 4-byte Folded Spill
	;; [unrolled: 1-line block ×4, first 2 shown]
	s_clause 0x3
	global_load_dwordx2 v[110:111], v140, s[8:9] offset:768
	global_load_dwordx2 v[100:101], v140, s[8:9] offset:1536
	global_load_dwordx2 v[53:54], v43, s[8:9]
	global_load_dwordx2 v[98:99], v44, s[8:9]
	v_add_co_ci_u32_e32 v43, vcc_lo, 0, v27, vcc_lo
	s_clause 0x8
	global_load_dwordx2 v[88:89], v86, s[8:9]
	global_load_dwordx2 v[75:76], v50, s[8:9]
	global_load_dwordx2 v[79:80], v[18:19], off offset:1280
	global_load_dwordx2 v[106:107], v[32:33], off offset:256
	;; [unrolled: 1-line block ×7, first 2 shown]
	v_mov_b32_e32 v42, v49
	v_mad_u64_u32 v[14:15], null, s12, v46, 0
	v_mad_u64_u32 v[16:17], null, s12, v136, 0
	v_add_co_u32 v44, vcc_lo, 0x4000, v26
	v_add_co_ci_u32_e32 v45, vcc_lo, 0, v27, vcc_lo
	v_mad_u64_u32 v[18:19], null, s12, v42, 0
	v_add_co_u32 v26, vcc_lo, 0x4800, v26
	v_add_co_ci_u32_e32 v27, vcc_lo, 0, v27, vcc_lo
	v_mad_u64_u32 v[20:21], null, s12, v52, 0
	buffer_store_dword v46, off, s[20:23], 0 offset:4 ; 4-byte Folded Spill
	buffer_store_dword v42, off, s[20:23], 0 offset:52 ; 4-byte Folded Spill
	s_clause 0x3
	global_load_dwordx2 v[59:60], v[22:23], off offset:768
	global_load_dwordx2 v[77:78], v[44:45], off offset:512
	;; [unrolled: 1-line block ×4, first 2 shown]
	v_mad_u64_u32 v[22:23], null, s13, v46, v[15:16]
	v_mad_u64_u32 v[32:33], null, s13, v136, v[17:18]
	;; [unrolled: 1-line block ×3, first 2 shown]
	s_mul_i32 s8, s13, 0xffffb200
	s_mul_i32 s9, s13, 0xffffbb00
	v_mov_b32_e32 v15, v22
	v_mad_u64_u32 v[43:44], null, s13, v52, v[21:22]
	v_mov_b32_e32 v17, v32
	v_mov_b32_e32 v19, v42
	v_lshlrev_b64 v[14:15], 3, v[14:15]
	v_mad_u64_u32 v[22:23], null, 0xffffb200, s12, v[28:29]
	v_lshlrev_b64 v[16:17], 3, v[16:17]
	v_mov_b32_e32 v21, v43
	v_lshlrev_b64 v[18:19], 3, v[18:19]
	v_add_co_u32 v14, vcc_lo, v24, v14
	v_add_co_ci_u32_e32 v15, vcc_lo, v25, v15, vcc_lo
	v_lshlrev_b64 v[20:21], 3, v[20:21]
	v_add_co_u32 v16, vcc_lo, v24, v16
	v_add_co_ci_u32_e32 v17, vcc_lo, v25, v17, vcc_lo
	v_add_co_u32 v18, vcc_lo, v24, v18
	s_sub_i32 s8, s8, s12
	v_add_co_ci_u32_e32 v19, vcc_lo, v25, v19, vcc_lo
	v_add_co_u32 v20, vcc_lo, v24, v20
	v_add_nc_u32_e32 v23, s8, v23
	v_add_co_ci_u32_e32 v21, vcc_lo, v25, v21, vcc_lo
	v_add_co_u32 v24, vcc_lo, v22, s15
	v_add_co_ci_u32_e32 v25, vcc_lo, s14, v23, vcc_lo
	global_load_dwordx2 v[51:52], v[36:37], off offset:1792
	v_add_co_u32 v28, vcc_lo, v24, s1
	s_clause 0x2
	global_load_dwordx2 v[14:15], v[14:15], off
	global_load_dwordx2 v[16:17], v[16:17], off
	;; [unrolled: 1-line block ×4, first 2 shown]
	v_add_co_ci_u32_e32 v29, vcc_lo, s0, v25, vcc_lo
	global_load_dwordx2 v[24:25], v[24:25], off
	s_waitcnt vmcnt(44)
	buffer_store_dword v73, off, s[20:23], 0 offset:240 ; 4-byte Folded Spill
	buffer_store_dword v74, off, s[20:23], 0 offset:244 ; 4-byte Folded Spill
	v_add_co_u32 v32, vcc_lo, v28, s1
	v_add_co_ci_u32_e32 v33, vcc_lo, s0, v29, vcc_lo
	s_sub_i32 s9, s9, s12
	s_waitcnt vmcnt(41)
	buffer_store_dword v67, off, s[20:23], 0 offset:208 ; 4-byte Folded Spill
	buffer_store_dword v68, off, s[20:23], 0 offset:212 ; 4-byte Folded Spill
	buffer_store_dword v57, off, s[20:23], 0 offset:184 ; 4-byte Folded Spill
	buffer_store_dword v58, off, s[20:23], 0 offset:188 ; 4-byte Folded Spill
	buffer_store_dword v47, off, s[20:23], 0 offset:136 ; 4-byte Folded Spill
	buffer_store_dword v48, off, s[20:23], 0 offset:140 ; 4-byte Folded Spill
	s_waitcnt vmcnt(36)
	buffer_store_dword v61, off, s[20:23], 0 offset:152 ; 4-byte Folded Spill
	buffer_store_dword v62, off, s[20:23], 0 offset:156 ; 4-byte Folded Spill
	global_load_dwordx2 v[20:21], v[20:21], off
	global_load_dwordx2 v[28:29], v[28:29], off
	v_mul_f32_e32 v37, v6, v74
	v_mul_f32_e32 v36, v7, v74
	v_fma_f32 v37, v7, v73, -v37
	v_fmac_f32_e32 v36, v6, v73
	v_mul_f32_e32 v43, v2, v68
	v_mul_f32_e32 v44, v0, v58
	;; [unrolled: 1-line block ×5, first 2 shown]
	v_fma_f32 v43, v3, v67, -v43
	v_fma_f32 v7, v1, v57, -v44
	v_add_co_u32 v1, vcc_lo, v32, s15
	v_mul_f32_e32 v3, v5, v48
	v_fmac_f32_e32 v42, v2, v67
	v_add_co_ci_u32_e32 v2, vcc_lo, s14, v33, vcc_lo
	v_add_co_u32 v46, vcc_lo, v1, s1
	v_fmac_f32_e32 v6, v0, v57
	v_fmac_f32_e32 v3, v4, v47
	v_fma_f32 v4, v5, v47, -v45
	v_add_co_ci_u32_e32 v47, vcc_lo, s0, v2, vcc_lo
	ds_write_b64 v140, v[42:43] offset:9216
	s_waitcnt vmcnt(37)
	v_mul_f32_e32 v44, v9, v62
	v_mul_f32_e32 v0, v8, v62
	v_fmac_f32_e32 v44, v8, v61
	v_add_co_u32 v8, vcc_lo, v46, s1
	v_fma_f32 v45, v9, v61, -v0
	v_add_co_ci_u32_e32 v9, vcc_lo, s0, v47, vcc_lo
	global_load_dwordx2 v[32:33], v[32:33], off
	global_load_dwordx2 v[0:1], v[1:2], off
	;; [unrolled: 1-line block ×3, first 2 shown]
	ds_write_b64 v140, v[6:7] offset:18432
	s_waitcnt vmcnt(39)
	buffer_store_dword v92, off, s[20:23], 0 offset:224 ; 4-byte Folded Spill
	buffer_store_dword v93, off, s[20:23], 0 offset:228 ; 4-byte Folded Spill
	v_mad_u64_u32 v[42:43], null, 0xffffbb00, s12, v[8:9]
	global_load_dwordx2 v[7:8], v[8:9], off
	ds_write_b64 v140, v[44:45] offset:2304
	s_waitcnt vmcnt(39)
	buffer_store_dword v55, off, s[20:23], 0 offset:144 ; 4-byte Folded Spill
	buffer_store_dword v56, off, s[20:23], 0 offset:148 ; 4-byte Folded Spill
	v_add_nc_u32_e32 v43, s9, v43
	v_add_co_u32 v44, vcc_lo, v42, s1
	v_add_co_ci_u32_e32 v45, vcc_lo, s0, v43, vcc_lo
	global_load_dwordx2 v[42:43], v[42:43], off
	s_waitcnt vmcnt(39)
	v_mul_f32_e32 v5, v11, v93
	v_mul_f32_e32 v2, v10, v93
	v_fmac_f32_e32 v5, v10, v92
	v_fma_f32 v6, v11, v92, -v2
	s_waitcnt vmcnt(38)
	v_mul_f32_e32 v9, v13, v56
	v_mul_f32_e32 v2, v12, v56
	v_add_co_u32 v11, vcc_lo, v44, s15
	ds_write_b64 v140, v[5:6] offset:4608
	s_waitcnt vmcnt(37)
	buffer_store_dword v69, off, s[20:23], 0 offset:128 ; 4-byte Folded Spill
	buffer_store_dword v70, off, s[20:23], 0 offset:132 ; 4-byte Folded Spill
	v_fmac_f32_e32 v9, v12, v55
	v_fma_f32 v10, v13, v55, -v2
	v_add_co_ci_u32_e32 v12, vcc_lo, s14, v45, vcc_lo
	global_load_dwordx2 v[44:45], v[44:45], off
	ds_write_b64 v140, v[9:10] offset:6912
	s_waitcnt vmcnt(36)
	buffer_store_dword v96, off, s[20:23], 0 offset:192 ; 4-byte Folded Spill
	buffer_store_dword v97, off, s[20:23], 0 offset:196 ; 4-byte Folded Spill
	v_mul_f32_e32 v5, v31, v70
	v_mul_f32_e32 v2, v30, v70
	v_fmac_f32_e32 v5, v30, v69
	v_fma_f32 v6, v31, v69, -v2
	v_add_co_u32 v30, vcc_lo, v11, s1
	s_waitcnt vmcnt(35)
	v_mul_f32_e32 v9, v35, v97
	v_mul_f32_e32 v2, v34, v97
	v_add_co_ci_u32_e32 v31, vcc_lo, s0, v12, vcc_lo
	global_load_dwordx2 v[11:12], v[11:12], off
	ds_write_b64 v140, v[5:6] offset:11520
	s_waitcnt vmcnt(35)
	buffer_store_dword v71, off, s[20:23], 0 offset:120 ; 4-byte Folded Spill
	buffer_store_dword v72, off, s[20:23], 0 offset:124 ; 4-byte Folded Spill
	v_fmac_f32_e32 v9, v34, v96
	v_add_co_u32 v34, vcc_lo, v30, s1
	v_fma_f32 v10, v35, v96, -v2
	v_add_co_ci_u32_e32 v35, vcc_lo, s0, v31, vcc_lo
	global_load_dwordx2 v[30:31], v[30:31], off
	s_waitcnt vmcnt(34)
	buffer_store_dword v63, off, s[20:23], 0 offset:96 ; 4-byte Folded Spill
	buffer_store_dword v64, off, s[20:23], 0 offset:100 ; 4-byte Folded Spill
	ds_write_b64 v140, v[9:10] offset:13824
	v_add_co_u32 v9, vcc_lo, v34, s15
	v_add_co_ci_u32_e32 v10, vcc_lo, s14, v35, vcc_lo
	global_load_dwordx2 v[34:35], v[34:35], off
	v_mul_f32_e32 v5, v39, v72
	v_mul_f32_e32 v2, v38, v72
	v_fmac_f32_e32 v5, v38, v71
	v_fma_f32 v6, v39, v71, -v2
	s_waitcnt vmcnt(34)
	v_mul_f32_e32 v38, v41, v64
	v_mul_f32_e32 v2, v40, v64
	ds_write_b64 v140, v[5:6] offset:16128
	v_fmac_f32_e32 v38, v40, v63
	v_add_co_u32 v40, vcc_lo, v9, s1
	v_fma_f32 v39, v41, v63, -v2
	v_add_co_ci_u32_e32 v41, vcc_lo, s0, v10, vcc_lo
	v_add_co_u32 v5, vcc_lo, v40, s1
	global_load_dwordx2 v[9:10], v[9:10], off
	v_add_co_ci_u32_e32 v6, vcc_lo, s0, v41, vcc_lo
	global_load_dwordx2 v[55:56], v[26:27], off offset:1536
	global_load_dwordx2 v[26:27], v[40:41], off
	global_load_dwordx2 v[5:6], v[5:6], off
	s_waitcnt vmcnt(37)
	buffer_store_dword v110, off, s[20:23], 0 offset:256 ; 4-byte Folded Spill
	buffer_store_dword v111, off, s[20:23], 0 offset:260 ; 4-byte Folded Spill
	ds_write_b64 v140, v[38:39] offset:20736
	s_waitcnt vmcnt(31)
	buffer_store_dword v79, off, s[20:23], 0 offset:248 ; 4-byte Folded Spill
	buffer_store_dword v80, off, s[20:23], 0 offset:252 ; 4-byte Folded Spill
	v_cmp_gt_u16_e32 vcc_lo, 60, v83
	s_waitcnt vmcnt(16)
	v_mul_f32_e32 v2, v22, v111
	v_mul_f32_e32 v38, v23, v111
	v_fma_f32 v39, v23, v110, -v2
	s_waitcnt vmcnt(15)
	v_mul_f32_e32 v2, v24, v80
	v_fmac_f32_e32 v38, v22, v110
	v_mul_f32_e32 v22, v25, v80
	v_add_nc_u32_e32 v80, 0x800, v140
	v_fma_f32 v23, v25, v79, -v2
	v_add_nc_u32_e32 v2, 0x1400, v140
	v_fmac_f32_e32 v22, v24, v79
	ds_write2_b64 v140, v[36:37], v[38:39] offset1:96
	buffer_store_dword v53, off, s[20:23], 0 offset:20 ; 4-byte Folded Spill
	buffer_store_dword v54, off, s[20:23], 0 offset:24 ; 4-byte Folded Spill
	v_add_nc_u32_e32 v37, 0x2400, v140
	v_mov_b32_e32 v191, v2
	ds_write2_b64 v2, v[22:23], v[3:4] offset0:32 offset1:128
	buffer_store_dword v98, off, s[20:23], 0 offset:160 ; 4-byte Folded Spill
	buffer_store_dword v99, off, s[20:23], 0 offset:164 ; 4-byte Folded Spill
	;; [unrolled: 1-line block ×8, first 2 shown]
	v_add_nc_u32_e32 v36, 0x4800, v140
	v_add_nc_u32_e32 v25, 0x4000, v140
	v_mov_b32_e32 v190, v37
	v_mov_b32_e32 v196, v36
	;; [unrolled: 1-line block ×3, first 2 shown]
	v_mul_f32_e32 v24, v14, v54
	v_mul_f32_e32 v2, v15, v54
	;; [unrolled: 1-line block ×4, first 2 shown]
	v_fma_f32 v3, v15, v53, -v24
	v_mul_f32_e32 v22, v18, v89
	v_fmac_f32_e32 v2, v14, v53
	v_mul_f32_e32 v15, v19, v89
	v_fma_f32 v14, v17, v98, -v4
	s_waitcnt vmcnt(14)
	v_mul_f32_e32 v4, v20, v76
	v_fmac_f32_e32 v13, v16, v98
	v_fma_f32 v16, v19, v88, -v22
	v_mul_f32_e32 v17, v21, v76
	v_fmac_f32_e32 v15, v18, v88
	v_fma_f32 v18, v21, v75, -v4
	s_waitcnt vmcnt(11)
	v_mul_f32_e32 v4, v0, v107
	v_mul_f32_e32 v19, v1, v107
	;; [unrolled: 1-line block ×3, first 2 shown]
	v_fmac_f32_e32 v17, v20, v75
	v_fma_f32 v20, v1, v106, -v4
	v_fmac_f32_e32 v19, v0, v106
	v_mul_f32_e32 v0, v29, v95
	v_fma_f32 v1, v29, v94, -v21
	buffer_store_dword v94, off, s[20:23], 0 offset:104 ; 4-byte Folded Spill
	buffer_store_dword v95, off, s[20:23], 0 offset:108 ; 4-byte Folded Spill
	s_load_dwordx4 s[0:3], s[2:3], 0x0
	buffer_store_dword v108, off, s[20:23], 0 offset:232 ; 4-byte Folded Spill
	buffer_store_dword v109, off, s[20:23], 0 offset:236 ; 4-byte Folded Spill
	ds_write2_b64 v162, v[19:20], v[2:3] offset0:32 offset1:128
	buffer_store_dword v77, off, s[20:23], 0 offset:80 ; 4-byte Folded Spill
	buffer_store_dword v78, off, s[20:23], 0 offset:84 ; 4-byte Folded Spill
	;; [unrolled: 1-line block ×10, first 2 shown]
	v_fmac_f32_e32 v0, v28, v94
	v_mul_f32_e32 v4, v32, v109
	v_mul_f32_e32 v2, v33, v109
	s_waitcnt vmcnt(10)
	v_mul_f32_e32 v20, v46, v78
	s_waitcnt vmcnt(9)
	v_mul_f32_e32 v21, v8, v105
	s_waitcnt vmcnt(8)
	v_mul_f32_e32 v23, v43, v101
	v_fma_f32 v3, v33, v108, -v4
	v_mul_f32_e32 v4, v7, v105
	s_waitcnt vmcnt(6)
	v_mul_f32_e32 v28, v12, v91
	v_fmac_f32_e32 v21, v7, v104
	v_mul_f32_e32 v7, v45, v103
	v_fmac_f32_e32 v23, v42, v100
	v_fma_f32 v22, v8, v104, -v4
	v_mul_f32_e32 v4, v42, v101
	v_mul_f32_e32 v8, v44, v103
	v_fmac_f32_e32 v7, v44, v102
	v_fmac_f32_e32 v28, v11, v90
	v_mul_f32_e32 v19, v47, v78
	v_fma_f32 v24, v43, v100, -v4
	v_mul_f32_e32 v4, v11, v91
	v_fma_f32 v8, v45, v102, -v8
	ds_write_b64 v140, v[23:24] offset:1536
	ds_write2_b64 v80, v[13:14], v[7:8] offset0:128 offset1:224
	v_fma_f32 v29, v12, v90, -v4
	buffer_store_dword v65, off, s[20:23], 0 offset:64 ; 4-byte Folded Spill
	buffer_store_dword v66, off, s[20:23], 0 offset:68 ; 4-byte Folded Spill
	v_fmac_f32_e32 v2, v32, v108
	v_fma_f32 v20, v47, v77, -v20
	v_fmac_f32_e32 v19, v46, v77
	ds_write2_b64 v184, v[0:1], v[28:29] offset0:64 offset1:160
	buffer_store_dword v59, off, s[20:23], 0 offset:56 ; 4-byte Folded Spill
	buffer_store_dword v60, off, s[20:23], 0 offset:60 ; 4-byte Folded Spill
	;; [unrolled: 1-line block ×4, first 2 shown]
	s_waitcnt vmcnt(2)
	buffer_store_dword v55, off, s[20:23], 0 offset:36 ; 4-byte Folded Spill
	buffer_store_dword v56, off, s[20:23], 0 offset:40 ; 4-byte Folded Spill
	buffer_store_dword v51, off, s[20:23], 0 offset:28 ; 4-byte Folded Spill
	buffer_store_dword v52, off, s[20:23], 0 offset:32 ; 4-byte Folded Spill
	v_mul_f32_e32 v4, v30, v66
	v_mul_f32_e32 v7, v31, v66
	v_fma_f32 v8, v31, v65, -v4
	v_mul_f32_e32 v4, v9, v50
	v_mul_f32_e32 v1, v34, v60
	;; [unrolled: 1-line block ×3, first 2 shown]
	s_waitcnt vmcnt(1)
	v_mul_f32_e32 v13, v27, v56
	v_mul_f32_e32 v11, v10, v50
	v_fma_f32 v12, v10, v49, -v4
	v_mul_f32_e32 v4, v26, v56
	s_waitcnt vmcnt(0)
	v_mul_f32_e32 v10, v5, v52
	v_mul_f32_e32 v23, v6, v52
	v_fmac_f32_e32 v7, v30, v65
	v_fma_f32 v1, v35, v59, -v1
	v_fmac_f32_e32 v0, v34, v59
	v_fma_f32 v14, v27, v55, -v4
	v_fmac_f32_e32 v13, v26, v55
	v_fmac_f32_e32 v11, v9, v49
	v_fma_f32 v24, v6, v51, -v10
	v_fmac_f32_e32 v23, v5, v51
	ds_write2_b64 v37, v[2:3], v[7:8] offset0:96 offset1:192
	ds_write2_b64 v87, v[15:16], v[0:1] offset1:96
	ds_write2_b64 v25, v[19:20], v[11:12] offset0:64 offset1:160
	ds_write2_b64 v36, v[21:22], v[13:14] offset0:96 offset1:192
	;; [unrolled: 1-line block ×3, first 2 shown]
	s_waitcnt lgkmcnt(0)
	s_waitcnt_vscnt null, 0x0
	s_barrier
	buffer_gl0_inv
	ds_read2_b64 v[0:3], v140 offset1:96
	ds_read2_b64 v[4:7], v85 offset0:64 offset1:160
	ds_read2_b64 v[8:11], v36 offset1:96
	ds_read2_b64 v[35:38], v84 offset0:128 offset1:224
	v_add_nc_u32_e32 v34, 0x3400, v140
	v_mov_b32_e32 v210, v34
	s_waitcnt lgkmcnt(2)
	v_add_f32_e32 v24, v0, v4
	s_waitcnt lgkmcnt(1)
	v_sub_f32_e32 v12, v5, v9
	s_waitcnt lgkmcnt(0)
	v_sub_f32_e32 v23, v4, v35
	v_add_f32_e32 v14, v4, v8
	v_sub_f32_e32 v15, v35, v4
	v_add_f32_e32 v25, v1, v5
	v_sub_f32_e32 v13, v4, v8
	v_sub_f32_e32 v26, v5, v36
	v_add_f32_e32 v16, v5, v9
	v_sub_f32_e32 v17, v36, v5
	v_add_f32_e32 v4, v2, v6
	v_add_f32_e32 v5, v3, v7
	v_sub_f32_e32 v18, v7, v11
	v_sub_f32_e32 v22, v6, v37
	v_add_f32_e32 v20, v6, v10
	v_sub_f32_e32 v21, v37, v6
	v_sub_f32_e32 v19, v6, v10
	;; [unrolled: 3-line block ×3, first 2 shown]
	v_add_f32_e32 v31, v4, v37
	v_add_f32_e32 v33, v5, v38
	ds_read2_b64 v[4:7], v34 offset0:64 offset1:160
	v_add_f32_e32 v29, v25, v36
	v_add_f32_e32 v28, v24, v35
	s_waitcnt lgkmcnt(0)
	v_add_f32_e32 v75, v35, v4
	v_sub_f32_e32 v43, v35, v4
	v_add_f32_e32 v35, v37, v6
	v_sub_f32_e32 v25, v37, v6
	v_add_f32_e32 v29, v29, v5
	v_add_f32_e32 v37, v33, v7
	;; [unrolled: 1-line block ×4, first 2 shown]
	v_sub_f32_e32 v42, v36, v5
	v_add_f32_e32 v46, v29, v9
	v_add_f32_e32 v29, v37, v11
	v_add_nc_u32_e32 v37, 0x2800, v140
	v_add_f32_e32 v77, v36, v5
	v_sub_f32_e32 v24, v38, v7
	v_add_f32_e32 v36, v38, v7
	v_sub_f32_e32 v88, v8, v4
	v_sub_f32_e32 v53, v4, v8
	;; [unrolled: 1-line block ×8, first 2 shown]
	v_add_f32_e32 v45, v28, v8
	v_add_f32_e32 v28, v31, v10
	ds_read2_b64 v[4:7], v82 offset0:64 offset1:160
	ds_read2_b64 v[8:11], v255 offset1:96
	ds_read2_b64 v[93:96], v81 offset0:64 offset1:160
	ds_read2_b64 v[59:62], v37 offset0:64 offset1:160
	v_mov_b32_e32 v155, v37
	v_fma_f32 v75, -0.5, v75, v0
	v_fma_f32 v0, -0.5, v14, v0
	v_add_f32_e32 v15, v15, v53
	v_fma_f32 v77, -0.5, v77, v1
	v_fma_f32 v1, -0.5, v16, v1
	v_add_f32_e32 v23, v23, v88
	v_fmamk_f32 v53, v42, 0xbf737871, v0
	v_fmac_f32_e32 v0, 0x3f737871, v42
	v_add_f32_e32 v26, v26, v92
	v_add_f32_e32 v17, v17, v54
	v_fmamk_f32 v54, v43, 0x3f737871, v1
	v_fmac_f32_e32 v53, 0x3f167918, v12
	v_fmac_f32_e32 v0, 0xbf167918, v12
	v_fmac_f32_e32 v1, 0xbf737871, v43
	v_fma_f32 v35, -0.5, v35, v2
	v_fmac_f32_e32 v54, 0xbf167918, v13
	s_waitcnt lgkmcnt(2)
	v_add_f32_e32 v44, v6, v10
	s_waitcnt lgkmcnt(1)
	v_sub_f32_e32 v48, v11, v96
	s_waitcnt lgkmcnt(0)
	v_sub_f32_e32 v109, v10, v61
	v_add_f32_e32 v56, v10, v95
	v_sub_f32_e32 v57, v61, v10
	v_add_f32_e32 v52, v11, v96
	v_add_f32_e32 v47, v7, v11
	v_sub_f32_e32 v49, v10, v95
	v_sub_f32_e32 v110, v11, v62
	;; [unrolled: 1-line block ×3, first 2 shown]
	v_add_f32_e32 v10, v4, v8
	v_add_f32_e32 v11, v5, v9
	v_sub_f32_e32 v31, v9, v94
	v_sub_f32_e32 v58, v8, v59
	v_add_f32_e32 v37, v8, v93
	v_sub_f32_e32 v41, v59, v8
	v_sub_f32_e32 v38, v8, v93
	;; [unrolled: 3-line block ×3, first 2 shown]
	v_add_f32_e32 v68, v10, v59
	v_add_f32_e32 v69, v11, v60
	ds_read2_b64 v[8:11], v162 offset0:128 offset1:224
	v_add_f32_e32 v63, v44, v61
	v_add_f32_e32 v67, v47, v62
	v_fmac_f32_e32 v53, 0x3e9e377a, v15
	v_fmac_f32_e32 v0, 0x3e9e377a, v15
	;; [unrolled: 1-line block ×4, first 2 shown]
	v_fma_f32 v36, -0.5, v36, v3
	v_fma_f32 v2, -0.5, v20, v2
	v_fmac_f32_e32 v3, -0.5, v27
	v_fmac_f32_e32 v1, 0x3e9e377a, v17
	s_waitcnt lgkmcnt(0)
	v_add_f32_e32 v111, v61, v10
	v_sub_f32_e32 v112, v62, v11
	v_add_f32_e32 v113, v62, v11
	v_sub_f32_e32 v114, v61, v10
	v_add_f32_e32 v65, v59, v8
	v_sub_f32_e32 v44, v60, v9
	v_add_f32_e32 v66, v60, v9
	v_sub_f32_e32 v47, v59, v8
	v_add_f32_e32 v61, v63, v10
	v_add_f32_e32 v62, v67, v11
	;; [unrolled: 1-line block ×4, first 2 shown]
	v_sub_f32_e32 v115, v95, v10
	v_sub_f32_e32 v116, v10, v95
	;; [unrolled: 1-line block ×8, first 2 shown]
	ds_read2_b64 v[8:11], v80 offset0:128 offset1:224
	ds_read2_b64 v[97:100], v184 offset0:64 offset1:160
	;; [unrolled: 1-line block ×3, first 2 shown]
	ds_read2_b64 v[105:108], v87 offset1:96
	v_add_f32_e32 v119, v61, v95
	v_add_f32_e32 v120, v62, v96
	;; [unrolled: 1-line block ×6, first 2 shown]
	v_mul_lo_u16 v115, v83, 10
	s_waitcnt lgkmcnt(2)
	v_add_f32_e32 v68, v8, v97
	s_waitcnt lgkmcnt(1)
	v_add_f32_e32 v93, v97, v101
	v_sub_f32_e32 v76, v98, v102
	s_waitcnt lgkmcnt(0)
	v_sub_f32_e32 v121, v97, v105
	v_sub_f32_e32 v96, v105, v97
	v_add_f32_e32 v91, v98, v102
	v_add_f32_e32 v69, v9, v98
	v_sub_f32_e32 v78, v97, v101
	v_sub_f32_e32 v122, v98, v106
	v_sub_f32_e32 v95, v106, v98
	v_add_f32_e32 v89, v10, v99
	v_add_f32_e32 v72, v99, v103
	v_sub_f32_e32 v61, v100, v104
	;; [unrolled: 5-line block ×3, first 2 shown]
	v_sub_f32_e32 v123, v100, v108
	v_sub_f32_e32 v90, v108, v100
	ds_read2_b64 v[97:100], v223 offset0:64 offset1:160
	v_add_f32_e32 v94, v94, v108
	v_add_f32_e32 v124, v68, v105
	;; [unrolled: 1-line block ×4, first 2 shown]
	s_waitcnt lgkmcnt(0)
	s_barrier
	buffer_gl0_inv
	v_add_f32_e32 v94, v94, v100
	v_add_f32_e32 v128, v107, v99
	v_sub_f32_e32 v68, v107, v99
	v_add_f32_e32 v107, v124, v97
	v_sub_f32_e32 v134, v100, v104
	v_sub_f32_e32 v135, v104, v100
	v_add_f32_e32 v94, v94, v104
	v_fma_f32 v104, -0.5, v111, v6
	v_fma_f32 v6, -0.5, v56, v6
	v_add_f32_e32 v124, v125, v98
	v_sub_f32_e32 v125, v101, v97
	v_sub_f32_e32 v129, v97, v101
	v_add_f32_e32 v101, v107, v101
	v_fma_f32 v107, -0.5, v113, v7
	v_fmamk_f32 v15, v112, 0xbf737871, v6
	v_fmac_f32_e32 v6, 0x3f737871, v112
	v_fma_f32 v7, -0.5, v52, v7
	v_fmamk_f32 v88, v48, 0x3f737871, v104
	v_add_f32_e32 v126, v105, v97
	v_fmac_f32_e32 v15, 0x3f167918, v48
	v_fmac_f32_e32 v6, 0xbf167918, v48
	v_fmamk_f32 v16, v114, 0x3f737871, v7
	v_fmac_f32_e32 v7, 0xbf737871, v114
	v_fmac_f32_e32 v88, 0x3f167918, v112
	;; [unrolled: 1-line block ×4, first 2 shown]
	v_add_f32_e32 v14, v55, v117
	v_fmac_f32_e32 v16, 0xbf167918, v49
	v_fmac_f32_e32 v7, 0x3f167918, v49
	v_sub_f32_e32 v105, v105, v97
	v_mul_f32_e32 v56, 0xbe9e377a, v6
	v_add_f32_e32 v89, v89, v99
	v_fmac_f32_e32 v16, 0x3e9e377a, v14
	v_fmac_f32_e32 v7, 0x3e9e377a, v14
	v_fmamk_f32 v97, v49, 0xbf737871, v107
	v_fmac_f32_e32 v88, 0x3e9e377a, v92
	v_mul_f32_e32 v55, 0xbf737871, v15
	v_mul_f32_e32 v52, 0x3f737871, v16
	v_fmac_f32_e32 v56, 0x3f737871, v7
	v_mul_f32_e32 v7, 0xbe9e377a, v7
	v_fmac_f32_e32 v104, 0xbf737871, v48
	v_fmac_f32_e32 v107, 0x3f737871, v49
	v_sub_f32_e32 v132, v103, v99
	v_sub_f32_e32 v133, v99, v103
	v_add_f32_e32 v89, v89, v103
	v_add_f32_e32 v103, v110, v118
	v_mul_f32_e32 v109, 0x3f4f1bbd, v88
	v_mul_f32_e32 v110, 0xbf167918, v88
	v_mov_b32_e32 v88, 3
	v_fmac_f32_e32 v52, 0x3e9e377a, v15
	v_fmac_f32_e32 v55, 0x3e9e377a, v16
	;; [unrolled: 1-line block ×5, first 2 shown]
	v_fmamk_f32 v111, v12, 0x3f737871, v75
	v_fmamk_f32 v113, v13, 0xbf737871, v77
	v_lshlrev_b32_sdwa v115, v88, v115 dst_sel:DWORD dst_unused:UNUSED_PAD src0_sel:DWORD src1_sel:WORD_0
	v_add_f32_e32 v14, v53, v52
	v_add_f32_e32 v16, v0, v56
	;; [unrolled: 1-line block ×4, first 2 shown]
	v_fmac_f32_e32 v75, 0xbf737871, v12
	v_fmac_f32_e32 v77, 0x3f737871, v13
	;; [unrolled: 1-line block ×5, first 2 shown]
	ds_write_b128 v115, v[14:17] offset:16
	v_fmac_f32_e32 v75, 0xbf167918, v42
	v_fmac_f32_e32 v77, 0x3f167918, v43
	v_mul_f32_e32 v6, 0xbf4f1bbd, v104
	v_mul_f32_e32 v16, 0xbf4f1bbd, v107
	v_fmac_f32_e32 v97, 0x3e9e377a, v103
	v_fmac_f32_e32 v111, 0x3f167918, v42
	;; [unrolled: 1-line block ×11, first 2 shown]
	v_sub_f32_e32 v14, v45, v119
	v_sub_f32_e32 v15, v46, v120
	v_add_f32_e32 v12, v75, v6
	v_add_f32_e32 v13, v77, v16
	v_sub_f32_e32 v127, v106, v98
	v_add_f32_e32 v106, v106, v98
	v_sub_f32_e32 v131, v102, v98
	v_fmamk_f32 v42, v19, 0xbf737871, v36
	ds_write_b128 v115, v[12:15] offset:32
	v_sub_f32_e32 v12, v111, v109
	v_sub_f32_e32 v14, v53, v52
	;; [unrolled: 1-line block ×4, first 2 shown]
	v_fma_f32 v23, -0.5, v106, v9
	v_add_f32_e32 v17, v122, v131
	v_fmac_f32_e32 v42, 0xbf167918, v25
	v_add_co_u32 v26, null, 0x60, v137
	ds_write_b128 v115, v[12:15] offset:48
	v_sub_f32_e32 v12, v0, v56
	v_add_f32_e32 v0, v22, v39
	v_fma_f32 v22, -0.5, v126, v8
	v_sub_f32_e32 v14, v75, v6
	v_sub_f32_e32 v13, v1, v7
	;; [unrolled: 1-line block ×3, first 2 shown]
	v_add_f32_e32 v16, v121, v125
	v_fmamk_f32 v6, v76, 0x3f737871, v22
	v_fmamk_f32 v7, v78, 0xbf737871, v23
	v_add_f32_e32 v1, v32, v40
	v_fmamk_f32 v40, v18, 0x3f737871, v35
	v_sub_f32_e32 v130, v98, v102
	v_fmac_f32_e32 v6, 0x3f167918, v127
	v_fmac_f32_e32 v7, 0xbf167918, v105
	v_add_f32_e32 v102, v124, v102
	v_fmac_f32_e32 v40, 0x3f167918, v24
	v_fmac_f32_e32 v42, 0x3e9e377a, v1
	;; [unrolled: 1-line block ×4, first 2 shown]
	v_sub_f32_e32 v69, v108, v100
	v_fmac_f32_e32 v40, 0x3e9e377a, v0
	v_add_f32_e32 v108, v108, v100
	v_mul_f32_e32 v32, 0x3f4f1bbd, v6
	v_mul_f32_e32 v39, 0xbf167918, v6
	v_mul_u32_u24_e32 v6, 10, v26
	v_add_f32_e32 v97, v45, v119
	v_add_f32_e32 v99, v111, v109
	v_fmac_f32_e32 v32, 0x3f167918, v7
	v_fmac_f32_e32 v39, 0x3f4f1bbd, v7
	v_add_f32_e32 v98, v46, v120
	v_add_f32_e32 v100, v113, v110
	ds_write_b128 v115, v[12:15] offset:64
	v_add_f32_e32 v12, v28, v101
	v_add_f32_e32 v14, v40, v32
	;; [unrolled: 1-line block ×4, first 2 shown]
	v_lshlrev_b32_e32 v43, 3, v6
	ds_write_b128 v115, v[97:100]
	v_add_f32_e32 v6, v21, v34
	v_fma_f32 v7, -0.5, v93, v8
	v_fma_f32 v9, -0.5, v91, v9
	ds_write_b128 v43, v[12:15]
	v_fmamk_f32 v12, v24, 0xbf737871, v2
	v_fmac_f32_e32 v2, 0x3f737871, v24
	v_fmamk_f32 v13, v25, 0x3f737871, v3
	v_fmac_f32_e32 v3, 0xbf737871, v25
	v_fmamk_f32 v8, v127, 0xbf737871, v7
	v_fmac_f32_e32 v12, 0x3f167918, v18
	v_fmac_f32_e32 v2, 0xbf167918, v18
	v_fmac_f32_e32 v13, 0xbf167918, v19
	;; [unrolled: 1-line block ×6, first 2 shown]
	v_add_f32_e32 v6, v30, v33
	v_fmac_f32_e32 v8, 0x3f167918, v76
	v_fmac_f32_e32 v7, 0xbf167918, v76
	v_fmamk_f32 v14, v105, 0x3f737871, v9
	v_fmac_f32_e32 v9, 0xbf737871, v105
	v_fmac_f32_e32 v13, 0x3e9e377a, v6
	;; [unrolled: 1-line block ×3, first 2 shown]
	v_add_f32_e32 v6, v96, v129
	v_fmac_f32_e32 v14, 0xbf167918, v78
	v_fmac_f32_e32 v9, 0x3f167918, v78
	;; [unrolled: 1-line block ×6, first 2 shown]
	v_add_f32_e32 v6, v95, v130
	v_fmac_f32_e32 v22, 0xbf167918, v127
	v_fmac_f32_e32 v23, 0x3f167918, v105
	v_mul_f32_e32 v20, 0xbf737871, v8
	v_fmac_f32_e32 v35, 0xbf737871, v18
	v_fmac_f32_e32 v14, 0x3e9e377a, v6
	;; [unrolled: 1-line block ×6, first 2 shown]
	v_mul_f32_e32 v15, 0x3f737871, v14
	v_fmac_f32_e32 v20, 0x3e9e377a, v14
	v_mul_f32_e32 v14, 0xbe9e377a, v7
	v_mul_f32_e32 v21, 0xbe9e377a, v9
	v_fmac_f32_e32 v35, 0xbf167918, v24
	v_fmac_f32_e32 v15, 0x3e9e377a, v8
	;; [unrolled: 1-line block ×5, first 2 shown]
	v_mul_f32_e32 v16, 0xbf4f1bbd, v22
	v_mul_f32_e32 v17, 0xbf4f1bbd, v23
	v_add_f32_e32 v6, v12, v15
	v_add_f32_e32 v8, v2, v14
	;; [unrolled: 1-line block ×4, first 2 shown]
	v_fmac_f32_e32 v35, 0x3e9e377a, v0
	v_fmac_f32_e32 v36, 0x3e9e377a, v1
	;; [unrolled: 1-line block ×4, first 2 shown]
	ds_write_b128 v43, v[6:9] offset:16
	v_sub_f32_e32 v8, v28, v101
	v_sub_f32_e32 v9, v29, v102
	v_add_f32_e32 v6, v35, v16
	v_add_f32_e32 v7, v36, v17
	v_sub_f32_e32 v1, v3, v21
	v_sub_f32_e32 v0, v2, v14
	;; [unrolled: 1-line block ×4, first 2 shown]
	ds_write_b128 v43, v[6:9] offset:32
	v_sub_f32_e32 v9, v13, v20
	v_fma_f32 v20, -0.5, v128, v10
	v_fma_f32 v21, -0.5, v108, v11
	ds_write_b128 v43, v[0:3] offset:64
	v_sub_f32_e32 v6, v40, v32
	v_sub_f32_e32 v8, v12, v15
	v_fmamk_f32 v0, v61, 0x3f737871, v20
	v_sub_f32_e32 v7, v42, v39
	v_add_f32_e32 v18, v74, v132
	v_fmamk_f32 v1, v67, 0xbf737871, v21
	v_fma_f32 v22, -0.5, v65, v4
	v_fmac_f32_e32 v0, 0x3f167918, v69
	v_fma_f32 v23, -0.5, v66, v5
	ds_write_b128 v43, v[6:9] offset:48
	v_add_f32_e32 v19, v123, v135
	v_fmac_f32_e32 v1, 0xbf167918, v68
	v_fmac_f32_e32 v0, 0x3e9e377a, v18
	v_fmamk_f32 v8, v31, 0x3f737871, v22
	v_fmamk_f32 v9, v38, 0xbf737871, v23
	v_add_f32_e32 v16, v58, v70
	v_add_f32_e32 v17, v64, v71
	v_fmac_f32_e32 v1, 0x3e9e377a, v19
	v_mul_f32_e32 v6, 0x3f4f1bbd, v0
	v_mul_f32_e32 v7, 0xbf167918, v0
	v_fmac_f32_e32 v8, 0x3f167918, v44
	v_fmac_f32_e32 v9, 0xbf167918, v47
	v_add_co_u32 v36, null, 0xc0, v137
	v_fmac_f32_e32 v6, 0x3f167918, v1
	v_fmac_f32_e32 v7, 0x3f4f1bbd, v1
	;; [unrolled: 1-line block ×4, first 2 shown]
	v_mul_u32_u24_e32 v12, 10, v36
	v_fmac_f32_e32 v11, -0.5, v79
	v_add_f32_e32 v0, v62, v89
	v_add_f32_e32 v2, v8, v6
	;; [unrolled: 1-line block ×4, first 2 shown]
	v_lshlrev_b32_e32 v27, 3, v12
	v_fma_f32 v12, -0.5, v72, v10
	v_fmamk_f32 v13, v68, 0x3f737871, v11
	v_fma_f32 v4, -0.5, v37, v4
	v_fmac_f32_e32 v11, 0xbf737871, v68
	ds_write_b128 v27, v[0:3]
	v_add_f32_e32 v1, v90, v134
	v_fmamk_f32 v10, v69, 0xbf737871, v12
	v_fmac_f32_e32 v12, 0x3f737871, v69
	v_fmac_f32_e32 v13, 0xbf167918, v67
	v_add_f32_e32 v0, v73, v133
	v_sub_f32_e32 v7, v9, v7
	v_fmac_f32_e32 v10, 0x3f167918, v61
	v_fmac_f32_e32 v12, 0xbf167918, v61
	;; [unrolled: 1-line block ×3, first 2 shown]
	v_fmamk_f32 v9, v44, 0xbf737871, v4
	v_fmac_f32_e32 v11, 0x3f167918, v67
	v_add_f32_e32 v24, v41, v59
	v_fmac_f32_e32 v12, 0x3e9e377a, v0
	v_fmac_f32_e32 v10, 0x3e9e377a, v0
	v_mul_f32_e32 v0, 0x3f737871, v13
	v_fmac_f32_e32 v9, 0x3f167918, v31
	v_fmac_f32_e32 v11, 0x3e9e377a, v1
	v_fmac_f32_e32 v5, -0.5, v50
	v_mul_f32_e32 v1, 0xbf737871, v10
	v_fmac_f32_e32 v0, 0x3e9e377a, v10
	v_fmac_f32_e32 v9, 0x3e9e377a, v24
	v_sub_f32_e32 v6, v8, v6
	v_fmac_f32_e32 v4, 0x3f737871, v44
	v_fmac_f32_e32 v1, 0x3e9e377a, v13
	v_fmamk_f32 v13, v47, 0x3f737871, v5
	v_sub_f32_e32 v8, v9, v0
	v_add_f32_e32 v10, v9, v0
	v_fmac_f32_e32 v5, 0xbf737871, v47
	v_fmac_f32_e32 v20, 0xbf737871, v61
	;; [unrolled: 1-line block ×3, first 2 shown]
	v_and_b32_e32 v0, 0xff, v83
	v_mul_f32_e32 v14, 0xbe9e377a, v12
	v_mul_f32_e32 v15, 0xbe9e377a, v11
	v_add_f32_e32 v25, v51, v60
	v_fmac_f32_e32 v13, 0xbf167918, v38
	v_fmac_f32_e32 v5, 0x3f167918, v38
	;; [unrolled: 1-line block ×5, first 2 shown]
	v_mul_lo_u16 v0, 0xcd, v0
	v_fmac_f32_e32 v14, 0x3f737871, v11
	v_fmac_f32_e32 v13, 0x3e9e377a, v25
	;; [unrolled: 1-line block ×9, first 2 shown]
	v_lshrrev_b16 v28, 11, v0
	v_add_f32_e32 v11, v13, v1
	v_sub_f32_e32 v9, v13, v1
	v_add_f32_e32 v13, v5, v15
	v_sub_f32_e32 v15, v5, v15
	;; [unrolled: 2-line block ×3, first 2 shown]
	v_fmac_f32_e32 v22, 0xbf167918, v44
	v_fmac_f32_e32 v23, 0x3f167918, v47
	v_mul_f32_e32 v4, 0xbf4f1bbd, v20
	v_mul_lo_u16 v0, v28, 10
	v_mul_f32_e32 v5, 0xbf4f1bbd, v21
	v_fmac_f32_e32 v22, 0x3e9e377a, v16
	v_fmac_f32_e32 v23, 0x3e9e377a, v17
	;; [unrolled: 1-line block ×3, first 2 shown]
	v_sub_nc_u16 v1, v83, v0
	v_fmac_f32_e32 v5, 0xbf167918, v20
	v_sub_f32_e32 v2, v62, v89
	v_sub_f32_e32 v3, v63, v94
	v_add_f32_e32 v0, v22, v4
	v_and_b32_e32 v29, 0xff, v1
	v_add_f32_e32 v1, v23, v5
	v_sub_f32_e32 v16, v22, v4
	v_sub_f32_e32 v17, v23, v5
	buffer_store_dword v115, off, s[20:23], 0 offset:304 ; 4-byte Folded Spill
	buffer_store_dword v43, off, s[20:23], 0 offset:296 ; 4-byte Folded Spill
	;; [unrolled: 1-line block ×3, first 2 shown]
	ds_write_b128 v27, v[10:13] offset:16
	ds_write_b128 v27, v[0:3] offset:32
	;; [unrolled: 1-line block ×4, first 2 shown]
	v_and_b32_e32 v27, 0xff, v26
	v_mad_u64_u32 v[4:5], null, v29, 40, s[10:11]
	s_waitcnt lgkmcnt(0)
	s_waitcnt_vscnt null, 0x0
	s_barrier
	v_mul_lo_u16 v6, 0xcd, v27
	buffer_gl0_inv
	ds_read2_b64 v[0:3], v184 offset0:64 offset1:160
	v_mov_b32_e32 v51, 0xcccd
	s_clause 0x1
	global_load_dwordx4 v[201:204], v[4:5], off
	global_load_dwordx4 v[219:222], v[4:5], off offset:16
	v_lshrrev_b16 v31, 11, v6
	v_mov_b32_e32 v110, 60
	v_mov_b32_e32 v23, v191
	;; [unrolled: 1-line block ×4, first 2 shown]
	v_mul_lo_u16 v6, v31, 10
	v_sub_nc_u16 v6, v26, v6
	v_and_b32_e32 v30, 0xff, v6
	v_mad_u64_u32 v[6:7], null, v30, 40, s[10:11]
	s_clause 0x1
	global_load_dwordx2 v[94:95], v[4:5], off offset:32
	global_load_dwordx4 v[192:195], v[6:7], off
	s_waitcnt vmcnt(3) lgkmcnt(0)
	v_mul_f32_e32 v8, v1, v204
	v_mul_f32_e32 v32, v0, v204
	v_fma_f32 v33, v0, v203, -v8
	v_fmac_f32_e32 v32, v1, v203
	s_waitcnt vmcnt(0)
	v_mul_f32_e32 v0, v3, v195
	v_mul_f32_e32 v43, v2, v195
	v_fma_f32 v44, v2, v194, -v0
	v_fmac_f32_e32 v43, v3, v194
	ds_read2_b64 v[0:3], v162 offset0:128 offset1:224
	s_clause 0x1
	global_load_dwordx2 v[8:9], v[6:7], off offset:32
	global_load_dwordx4 v[149:152], v[6:7], off offset:16
	s_waitcnt lgkmcnt(0)
	v_mul_f32_e32 v4, v1, v222
	v_mul_f32_e32 v49, v0, v222
	v_fma_f32 v50, v0, v221, -v4
	v_fmac_f32_e32 v49, v1, v221
	v_add_f32_e32 v101, v33, v50
	v_sub_f32_e32 v104, v32, v49
	s_waitcnt vmcnt(0)
	v_mul_f32_e32 v0, v3, v152
	v_mul_f32_e32 v45, v2, v152
	v_fma_f32 v46, v2, v151, -v0
	v_mul_u32_u24_sdwa v0, v36, v51 dst_sel:DWORD dst_unused:UNUSED_PAD src0_sel:WORD_0 src1_sel:DWORD
	v_fmac_f32_e32 v45, v3, v151
	v_lshrrev_b32_e32 v37, 19, v0
	v_mul_lo_u16 v0, v37, 10
	v_sub_nc_u16 v38, v36, v0
	v_mul_lo_u16 v0, v38, 40
	v_and_b32_e32 v0, 0xffff, v0
	v_add_co_u32 v24, s8, s10, v0
	v_add_co_ci_u32_e64 v25, null, s11, 0, s8
	ds_read2_b64 v[0:3], v85 offset0:64 offset1:160
	s_clause 0x1
	global_load_dwordx4 v[168:171], v[24:25], off
	global_load_dwordx4 v[141:144], v[24:25], off offset:16
	v_add_co_u32 v89, s8, 0x120, v137
	global_load_dwordx2 v[164:165], v[24:25], off offset:32
	v_add_co_ci_u32_e64 v90, null, 0, 0, s8
	s_waitcnt lgkmcnt(0)
	v_mul_f32_e32 v4, v1, v193
	v_mul_f32_e32 v42, v0, v193
	v_fma_f32 v41, v0, v192, -v4
	v_fmac_f32_e32 v42, v1, v192
	s_waitcnt vmcnt(2)
	v_mul_f32_e32 v0, v3, v169
	v_mul_f32_e32 v35, v2, v169
	v_fma_f32 v34, v2, v168, -v0
	v_fmac_f32_e32 v35, v3, v168
	ds_read2_b64 v[0:3], v87 offset1:96
	s_waitcnt lgkmcnt(0)
	v_mul_f32_e32 v4, v1, v150
	v_mul_f32_e32 v47, v0, v150
	s_waitcnt vmcnt(1)
	v_mul_f32_e32 v39, v2, v142
	v_fma_f32 v48, v0, v149, -v4
	v_mul_f32_e32 v0, v3, v142
	v_fmac_f32_e32 v47, v1, v149
	v_fmac_f32_e32 v39, v3, v141
	v_fma_f32 v40, v2, v141, -v0
	v_mul_u32_u24_sdwa v0, v89, v51 dst_sel:DWORD dst_unused:UNUSED_PAD src0_sel:WORD_0 src1_sel:DWORD
	v_lshrrev_b32_e32 v12, 19, v0
	v_mul_lo_u16 v0, v12, 10
	v_sub_nc_u16 v13, v89, v0
	v_mul_lo_u16 v0, v13, 40
	v_mad_u16 v12, v12, 60, v13
	v_and_b32_e32 v4, 0xffff, v0
	ds_read2_b64 v[0:3], v81 offset0:64 offset1:160
	buffer_store_dword v8, off, s[20:23], 0 offset:528 ; 4-byte Folded Spill
	buffer_store_dword v9, off, s[20:23], 0 offset:532 ; 4-byte Folded Spill
	v_lshlrev_b32_sdwa v12, v88, v12 dst_sel:DWORD dst_unused:UNUSED_PAD src0_sel:DWORD src1_sel:WORD_0
	v_add_co_u32 v4, s8, s10, v4
	s_waitcnt vmcnt(0) lgkmcnt(0)
	v_mul_f32_e32 v17, v2, v165
	v_fmac_f32_e32 v17, v3, v164
	v_mul_f32_e32 v5, v1, v9
	v_mul_f32_e32 v15, v0, v9
	v_fma_f32 v14, v0, v8, -v5
	v_add_co_ci_u32_e64 v5, null, s11, 0, s8
	v_mul_f32_e32 v0, v3, v165
	v_fmac_f32_e32 v15, v1, v8
	global_load_dwordx4 v[64:67], v[4:5], off
	v_fma_f32 v16, v2, v164, -v0
	ds_read2_b64 v[0:3], v84 offset0:128 offset1:224
	s_waitcnt lgkmcnt(0)
	v_mul_f32_e32 v6, v1, v171
	v_mul_f32_e32 v19, v0, v171
	v_fma_f32 v18, v0, v170, -v6
	v_fmac_f32_e32 v19, v1, v170
	s_waitcnt vmcnt(0)
	v_mul_f32_e32 v0, v3, v67
	v_mul_f32_e32 v25, v2, v67
	v_fma_f32 v24, v2, v66, -v0
	v_fmac_f32_e32 v25, v3, v66
	ds_read2_b64 v[0:3], v223 offset0:64 offset1:160
	s_clause 0x1
	global_load_dwordx2 v[160:161], v[4:5], off offset:32
	global_load_dwordx4 v[72:75], v[4:5], off offset:16
	s_waitcnt lgkmcnt(0)
	v_mul_f32_e32 v6, v1, v144
	v_mul_f32_e32 v52, v0, v144
	v_fma_f32 v51, v0, v143, -v6
	v_fmac_f32_e32 v52, v1, v143
	s_waitcnt vmcnt(0)
	v_mul_f32_e32 v0, v3, v75
	v_mul_f32_e32 v54, v2, v75
	v_fma_f32 v53, v2, v74, -v0
	v_mul_u32_u24_e32 v0, 0xcccd, v136
	v_fmac_f32_e32 v54, v3, v74
	v_lshrrev_b32_e32 v55, 19, v0
	v_mul_lo_u16 v0, v55, 10
	v_sub_nc_u16 v56, v136, v0
	v_mul_lo_u16 v0, v56, 40
	v_and_b32_e32 v0, 0xffff, v0
	v_add_co_u32 v4, s8, s10, v0
	v_add_co_ci_u32_e64 v5, null, s11, 0, s8
	ds_read2_b64 v[0:3], v255 offset1:96
	s_clause 0x1
	global_load_dwordx4 v[68:71], v[4:5], off
	global_load_dwordx4 v[76:79], v[4:5], off offset:16
	s_waitcnt lgkmcnt(0)
	v_mul_f32_e32 v6, v1, v65
	v_mul_f32_e32 v58, v0, v65
	v_fma_f32 v57, v0, v64, -v6
	v_fmac_f32_e32 v58, v1, v64
	s_waitcnt vmcnt(1)
	v_mul_f32_e32 v0, v3, v69
	v_mul_f32_e32 v60, v2, v69
	v_fma_f32 v59, v2, v68, -v0
	v_fmac_f32_e32 v60, v3, v68
	ds_read2_b64 v[0:3], v155 offset0:64 offset1:160
	s_waitcnt lgkmcnt(0)
	v_mul_f32_e32 v6, v3, v220
	v_mul_f32_e32 v9, v2, v220
	;; [unrolled: 1-line block ×3, first 2 shown]
	v_fma_f32 v8, v2, v219, -v6
	v_mul_f32_e32 v2, v1, v71
	v_fmac_f32_e32 v9, v3, v219
	v_fmac_f32_e32 v62, v1, v70
	v_fma_f32 v61, v0, v70, -v2
	ds_read2_b64 v[0:3], v210 offset0:64 offset1:160
	s_waitcnt lgkmcnt(0)
	v_mul_f32_e32 v6, v1, v73
	v_mul_f32_e32 v91, v0, v73
	s_waitcnt vmcnt(0)
	v_mul_f32_e32 v93, v2, v77
	v_fma_f32 v63, v0, v72, -v6
	v_mul_f32_e32 v0, v3, v77
	v_fmac_f32_e32 v91, v1, v72
	v_fmac_f32_e32 v93, v3, v76
	v_fma_f32 v92, v2, v76, -v0
	ds_read2_b64 v[0:3], v196 offset1:96
	buffer_store_dword v94, off, s[20:23], 0 offset:520 ; 4-byte Folded Spill
	buffer_store_dword v95, off, s[20:23], 0 offset:524 ; 4-byte Folded Spill
	global_load_dwordx2 v[199:200], v[4:5], off offset:32
	s_waitcnt lgkmcnt(0)
	v_mul_f32_e32 v6, v3, v95
	v_mul_f32_e32 v11, v2, v95
	v_mul_f32_e32 v95, v0, v79
	v_fma_f32 v10, v2, v94, -v6
	v_mul_f32_e32 v2, v1, v79
	v_fmac_f32_e32 v11, v3, v94
	v_fmac_f32_e32 v95, v1, v78
	v_add_f32_e32 v102, v8, v10
	v_fma_f32 v94, v0, v78, -v2
	ds_read2_b64 v[0:3], v163 offset0:128 offset1:224
	v_sub_f32_e32 v106, v9, v11
	v_sub_f32_e32 v105, v8, v10
	s_waitcnt lgkmcnt(0)
	v_mul_f32_e32 v4, v1, v161
	v_mul_f32_e32 v97, v0, v161
	s_waitcnt vmcnt(0)
	v_mul_f32_e32 v99, v2, v200
	v_fma_f32 v96, v0, v160, -v4
	v_mul_f32_e32 v0, v3, v200
	v_fmac_f32_e32 v97, v1, v160
	v_fmac_f32_e32 v99, v3, v199
	v_fma_f32 v98, v2, v199, -v0
	ds_read2_b64 v[0:3], v140 offset1:96
	s_waitcnt lgkmcnt(0)
	v_add_f32_e32 v4, v0, v33
	v_sub_f32_e32 v33, v33, v50
	v_add_f32_e32 v100, v4, v50
	ds_read2_b64 v[4:7], v80 offset0:128 offset1:224
	s_waitcnt lgkmcnt(0)
	v_mul_f32_e32 v50, v7, v202
	v_fma_f32 v50, v6, v201, -v50
	v_add_f32_e32 v103, v50, v8
	v_fmac_f32_e32 v50, -0.5, v102
	v_mul_f32_e32 v102, v6, v202
	v_add_f32_e32 v6, v9, v11
	v_add_f32_e32 v103, v103, v10
	v_fmac_f32_e32 v102, v7, v201
	v_add_f32_e32 v7, v102, v9
	v_fmac_f32_e32 v102, -0.5, v6
	v_add_f32_e32 v6, v1, v32
	v_add_f32_e32 v32, v32, v49
	;; [unrolled: 1-line block ×3, first 2 shown]
	v_fmamk_f32 v7, v106, 0x3f5db3d7, v50
	v_add_f32_e32 v49, v6, v49
	v_fmamk_f32 v6, v105, 0xbf5db3d7, v102
	v_fmac_f32_e32 v50, 0xbf5db3d7, v106
	v_fmac_f32_e32 v102, 0x3f5db3d7, v105
	v_mul_f32_e32 v109, 0xbf5db3d7, v7
	v_mul_f32_e32 v108, 0x3f5db3d7, v6
	v_fmac_f32_e32 v109, 0.5, v6
	v_mul_u32_u24_sdwa v6, v28, v110 dst_sel:DWORD dst_unused:UNUSED_PAD src0_sel:WORD_0 src1_sel:DWORD
	v_fma_f32 v28, -0.5, v101, v0
	v_fmac_f32_e32 v108, 0.5, v7
	v_add_f32_e32 v0, v100, v103
	v_add_lshl_u32 v111, v6, v29, 3
	v_fma_f32 v29, -0.5, v32, v1
	v_fmamk_f32 v32, v104, 0x3f5db3d7, v28
	v_add_f32_e32 v1, v49, v107
	ds_read2_b64 v[6:9], v82 offset0:64 offset1:160
	s_waitcnt lgkmcnt(0)
	s_waitcnt_vscnt null, 0x0
	v_fmamk_f32 v101, v33, 0xbf5db3d7, v29
	v_add_f32_e32 v10, v32, v108
	s_barrier
	buffer_gl0_inv
	v_fmac_f32_e32 v29, 0x3f5db3d7, v33
	v_add_f32_e32 v11, v101, v109
	v_mul_f32_e32 v33, -0.5, v50
	v_fmac_f32_e32 v28, 0xbf5db3d7, v104
	buffer_store_dword v12, off, s[20:23], 0 offset:504 ; 4-byte Folded Spill
	buffer_store_dword v111, off, s[20:23], 0 offset:516 ; 4-byte Folded Spill
	ds_write2_b64 v111, v[0:1], v[10:11] offset1:10
	v_sub_f32_e32 v1, v49, v107
	v_mul_f32_e32 v49, -0.5, v102
	v_fmac_f32_e32 v33, 0x3f5db3d7, v102
	v_sub_f32_e32 v0, v100, v103
	v_fmac_f32_e32 v49, 0xbf5db3d7, v50
	v_add_f32_e32 v10, v28, v33
	v_add_f32_e32 v11, v29, v49
	ds_write2_b64 v111, v[10:11], v[0:1] offset0:20 offset1:30
	v_sub_f32_e32 v0, v32, v108
	v_sub_f32_e32 v1, v101, v109
	;; [unrolled: 1-line block ×5, first 2 shown]
	v_add_f32_e32 v32, v42, v47
	v_sub_f32_e32 v33, v43, v45
	ds_write2_b64 v111, v[0:1], v[10:11] offset0:40 offset1:50
	v_add_f32_e32 v0, v43, v45
	v_add_f32_e32 v10, v48, v14
	;; [unrolled: 1-line block ×4, first 2 shown]
	v_fmac_f32_e32 v3, -0.5, v0
	v_add_f32_e32 v0, v2, v44
	v_fmac_f32_e32 v41, -0.5, v10
	v_add_f32_e32 v10, v47, v15
	v_add_f32_e32 v43, v1, v45
	v_sub_f32_e32 v45, v47, v15
	v_add_f32_e32 v28, v0, v46
	v_add_f32_e32 v0, v44, v46
	v_fmac_f32_e32 v42, -0.5, v10
	v_sub_f32_e32 v44, v48, v14
	v_add_f32_e32 v14, v11, v14
	v_fmamk_f32 v11, v45, 0x3f5db3d7, v41
	v_add_f32_e32 v15, v32, v15
	v_mul_u32_u24_sdwa v1, v31, v110 dst_sel:DWORD dst_unused:UNUSED_PAD src0_sel:WORD_0 src1_sel:DWORD
	v_fmamk_f32 v10, v44, 0xbf5db3d7, v42
	v_fma_f32 v2, -0.5, v0, v2
	v_mul_f32_e32 v32, 0xbf5db3d7, v11
	v_fmamk_f32 v46, v29, 0xbf5db3d7, v3
	v_add_lshl_u32 v47, v1, v30, 3
	v_mul_f32_e32 v31, 0x3f5db3d7, v10
	v_fmamk_f32 v30, v33, 0x3f5db3d7, v2
	v_fmac_f32_e32 v32, 0.5, v10
	v_add_f32_e32 v0, v28, v14
	v_add_f32_e32 v1, v43, v15
	v_fmac_f32_e32 v31, 0.5, v11
	v_fmac_f32_e32 v41, 0xbf5db3d7, v45
	v_add_f32_e32 v11, v46, v32
	v_fmac_f32_e32 v42, 0x3f5db3d7, v44
	v_fmac_f32_e32 v2, 0xbf5db3d7, v33
	v_add_f32_e32 v10, v30, v31
	v_fmac_f32_e32 v3, 0x3f5db3d7, v29
	buffer_store_dword v47, off, s[20:23], 0 offset:512 ; 4-byte Folded Spill
	ds_write2_b64 v47, v[0:1], v[10:11] offset1:10
	v_sub_f32_e32 v0, v28, v14
	v_sub_f32_e32 v1, v43, v15
	v_mul_f32_e32 v14, -0.5, v41
	v_mul_f32_e32 v15, -0.5, v42
	v_sub_f32_e32 v28, v39, v17
	v_fmac_f32_e32 v14, 0x3f5db3d7, v42
	v_fmac_f32_e32 v15, 0xbf5db3d7, v41
	v_add_f32_e32 v10, v2, v14
	v_add_f32_e32 v11, v3, v15
	ds_write2_b64 v47, v[10:11], v[0:1] offset0:20 offset1:30
	v_sub_f32_e32 v1, v3, v15
	v_sub_f32_e32 v0, v2, v14
	;; [unrolled: 1-line block ×5, first 2 shown]
	v_add_f32_e32 v15, v19, v52
	v_sub_f32_e32 v11, v18, v51
	v_mad_u16 v31, v37, 60, v38
	ds_write2_b64 v47, v[2:3], v[0:1] offset0:40 offset1:50
	v_add_f32_e32 v1, v40, v16
	v_add_f32_e32 v2, v34, v40
	;; [unrolled: 1-line block ×4, first 2 shown]
	v_lshlrev_b32_sdwa v31, v88, v31 dst_sel:DWORD dst_unused:UNUSED_PAD src0_sel:DWORD src1_sel:WORD_0
	v_fmac_f32_e32 v34, -0.5, v1
	v_add_f32_e32 v1, v39, v17
	v_add_f32_e32 v10, v0, v51
	;; [unrolled: 1-line block ×4, first 2 shown]
	buffer_store_dword v31, off, s[20:23], 0 offset:508 ; 4-byte Folded Spill
	v_fmac_f32_e32 v35, -0.5, v1
	v_add_f32_e32 v1, v7, v19
	v_sub_f32_e32 v19, v40, v16
	v_add_f32_e32 v16, v2, v16
	v_fmamk_f32 v2, v28, 0x3f5db3d7, v34
	v_fma_f32 v6, -0.5, v0, v6
	v_add_f32_e32 v18, v1, v52
	v_fmamk_f32 v1, v19, 0xbf5db3d7, v35
	v_fma_f32 v7, -0.5, v15, v7
	v_mul_f32_e32 v30, 0xbf5db3d7, v2
	v_fmamk_f32 v15, v14, 0x3f5db3d7, v6
	v_add_f32_e32 v0, v10, v16
	v_mul_f32_e32 v29, 0x3f5db3d7, v1
	v_fmamk_f32 v32, v11, 0xbf5db3d7, v7
	v_fmac_f32_e32 v30, 0.5, v1
	v_add_f32_e32 v1, v18, v17
	v_fmac_f32_e32 v34, 0xbf5db3d7, v28
	v_fmac_f32_e32 v29, 0.5, v2
	v_fmac_f32_e32 v35, 0x3f5db3d7, v19
	v_add_f32_e32 v3, v32, v30
	v_fmac_f32_e32 v7, 0x3f5db3d7, v11
	v_fmac_f32_e32 v6, 0xbf5db3d7, v14
	v_add_f32_e32 v2, v15, v29
	v_mul_f32_e32 v11, -0.5, v35
	ds_write2_b64 v31, v[0:1], v[2:3] offset1:10
	v_sub_f32_e32 v0, v10, v16
	v_mul_f32_e32 v10, -0.5, v34
	v_fmac_f32_e32 v11, 0xbf5db3d7, v34
	v_sub_f32_e32 v1, v18, v17
	v_sub_f32_e32 v17, v91, v97
	v_fmac_f32_e32 v10, 0x3f5db3d7, v35
	v_add_f32_e32 v3, v7, v11
	v_add_f32_e32 v2, v6, v10
	ds_write2_b64 v31, v[2:3], v[0:1] offset0:20 offset1:30
	v_sub_f32_e32 v0, v15, v29
	v_sub_f32_e32 v1, v32, v30
	;; [unrolled: 1-line block ×4, first 2 shown]
	v_add_f32_e32 v10, v58, v91
	v_sub_f32_e32 v15, v63, v96
	v_sub_f32_e32 v7, v24, v53
	;; [unrolled: 1-line block ×3, first 2 shown]
	ds_write2_b64 v31, v[0:1], v[2:3] offset0:40 offset1:50
	v_add_f32_e32 v2, v63, v96
	v_add_f32_e32 v0, v25, v54
	;; [unrolled: 1-line block ×5, first 2 shown]
	v_fmac_f32_e32 v57, -0.5, v2
	v_add_f32_e32 v2, v91, v97
	v_fmac_f32_e32 v9, -0.5, v0
	v_add_f32_e32 v0, v8, v24
	v_add_f32_e32 v14, v1, v54
	;; [unrolled: 1-line block ×3, first 2 shown]
	v_fmac_f32_e32 v58, -0.5, v2
	v_fmamk_f32 v2, v17, 0x3f5db3d7, v57
	v_add_f32_e32 v6, v0, v53
	v_add_f32_e32 v0, v24, v53
	v_fmamk_f32 v24, v7, 0xbf5db3d7, v9
	v_fmamk_f32 v1, v15, 0xbf5db3d7, v58
	v_mul_f32_e32 v19, 0xbf5db3d7, v2
	v_fmac_f32_e32 v57, 0xbf5db3d7, v17
	v_fma_f32 v8, -0.5, v0, v8
	v_add_f32_e32 v0, v6, v16
	v_mul_f32_e32 v18, 0x3f5db3d7, v1
	v_fmac_f32_e32 v19, 0.5, v1
	v_add_f32_e32 v1, v14, v10
	v_fmamk_f32 v13, v11, 0x3f5db3d7, v8
	v_fmac_f32_e32 v58, 0x3f5db3d7, v15
	v_fmac_f32_e32 v18, 0.5, v2
	v_add_f32_e32 v3, v24, v19
	v_fmac_f32_e32 v9, 0x3f5db3d7, v7
	v_fmac_f32_e32 v8, 0xbf5db3d7, v11
	v_mul_f32_e32 v7, -0.5, v58
	v_add_f32_e32 v2, v13, v18
	v_sub_f32_e32 v11, v92, v98
	v_fmac_f32_e32 v7, 0xbf5db3d7, v57
	ds_write2_b64 v12, v[0:1], v[2:3] offset1:10
	v_sub_f32_e32 v0, v6, v16
	v_mul_f32_e32 v6, -0.5, v57
	v_sub_f32_e32 v1, v14, v10
	v_add_f32_e32 v3, v9, v7
	v_mad_u16 v16, v55, 60, v56
	v_fmac_f32_e32 v6, 0x3f5db3d7, v58
	v_lshlrev_b32_sdwa v16, v88, v16 dst_sel:DWORD dst_unused:UNUSED_PAD src0_sel:DWORD src1_sel:WORD_0
	v_add_f32_e32 v2, v8, v6
	buffer_store_dword v16, off, s[20:23], 0 offset:500 ; 4-byte Folded Spill
	ds_write2_b64 v12, v[2:3], v[0:1] offset0:20 offset1:30
	v_sub_f32_e32 v1, v9, v7
	v_sub_f32_e32 v0, v8, v6
	;; [unrolled: 1-line block ×4, first 2 shown]
	v_add_f32_e32 v8, v59, v92
	v_sub_f32_e32 v7, v61, v94
	v_sub_f32_e32 v9, v62, v95
	ds_write2_b64 v12, v[2:3], v[0:1] offset0:40 offset1:50
	v_add_f32_e32 v2, v93, v99
	v_add_f32_e32 v0, v62, v95
	;; [unrolled: 1-line block ×4, first 2 shown]
	v_sub_f32_e32 v12, v93, v99
	v_fmac_f32_e32 v60, -0.5, v2
	v_add_f32_e32 v2, v92, v98
	v_fmac_f32_e32 v5, -0.5, v0
	v_add_f32_e32 v0, v4, v61
	v_add_f32_e32 v10, v1, v95
	v_fmamk_f32 v1, v11, 0xbf5db3d7, v60
	v_fmac_f32_e32 v59, -0.5, v2
	v_add_f32_e32 v8, v8, v98
	v_add_f32_e32 v6, v0, v94
	;; [unrolled: 1-line block ×3, first 2 shown]
	v_mul_f32_e32 v14, 0x3f5db3d7, v1
	v_fmamk_f32 v2, v12, 0x3f5db3d7, v59
	v_add_f32_e32 v13, v3, v99
	v_fmamk_f32 v18, v7, 0xbf5db3d7, v5
	v_fma_f32 v4, -0.5, v0, v4
	v_add_f32_e32 v0, v6, v8
	v_mul_f32_e32 v15, 0xbf5db3d7, v2
	v_fmac_f32_e32 v14, 0.5, v2
	v_fmac_f32_e32 v59, 0xbf5db3d7, v12
	v_fmamk_f32 v17, v9, 0x3f5db3d7, v4
	v_fmac_f32_e32 v60, 0x3f5db3d7, v11
	v_fmac_f32_e32 v15, 0.5, v1
	v_add_f32_e32 v1, v10, v13
	v_fmac_f32_e32 v5, 0x3f5db3d7, v7
	v_add_f32_e32 v2, v17, v14
	v_mul_f32_e32 v7, -0.5, v60
	v_add_f32_e32 v3, v18, v15
	v_fmac_f32_e32 v4, 0xbf5db3d7, v9
	v_mov_b32_e32 v11, 0x8889
	v_fmac_f32_e32 v7, 0xbf5db3d7, v59
	ds_write2_b64 v16, v[0:1], v[2:3] offset1:10
	v_sub_f32_e32 v0, v6, v8
	v_mul_f32_e32 v6, -0.5, v59
	v_sub_f32_e32 v1, v10, v13
	v_add_f32_e32 v3, v5, v7
	v_fmac_f32_e32 v6, 0x3f5db3d7, v60
	v_add_f32_e32 v2, v4, v6
	ds_write2_b64 v16, v[2:3], v[0:1] offset0:20 offset1:30
	v_sub_f32_e32 v1, v5, v7
	v_sub_f32_e32 v0, v4, v6
	;; [unrolled: 1-line block ×4, first 2 shown]
	ds_write2_b64 v16, v[2:3], v[0:1] offset0:40 offset1:50
	v_mul_lo_u16 v0, 0x89, v27
	v_subrev_nc_u32_e32 v1, 60, v137
	s_waitcnt lgkmcnt(0)
	s_waitcnt_vscnt null, 0x0
	s_barrier
	buffer_gl0_inv
	v_lshrrev_b16 v12, 13, v0
	v_cndmask_b32_e32 v8, v1, v137, vcc_lo
	v_mul_lo_u16 v0, v12, 60
	v_mul_i32_i24_e32 v1, 40, v8
	v_mul_hi_i32_i24_e32 v2, 40, v8
	v_sub_nc_u16 v0, v26, v0
	v_add_co_u32 v4, vcc_lo, s10, v1
	v_add_co_ci_u32_e32 v5, vcc_lo, s11, v2, vcc_lo
	v_and_b32_e32 v13, 0xff, v0
	ds_read2_b64 v[0:3], v184 offset0:64 offset1:160
	v_cmp_lt_u16_e32 vcc_lo, 59, v83
	s_clause 0x2
	global_load_dwordx4 v[24:27], v[4:5], off offset:400
	global_load_dwordx4 v[32:35], v[4:5], off offset:416
	global_load_dwordx2 v[128:129], v[4:5], off offset:432
	v_mad_u64_u32 v[4:5], null, v13, 40, s[10:11]
	global_load_dwordx4 v[28:31], v[4:5], off offset:400
	s_waitcnt vmcnt(3) lgkmcnt(0)
	v_mul_f32_e32 v6, v1, v27
	v_mul_f32_e32 v7, v0, v27
	v_fma_f32 v6, v0, v26, -v6
	v_fmac_f32_e32 v7, v1, v26
	s_waitcnt vmcnt(0)
	v_mul_f32_e32 v0, v3, v31
	v_mul_f32_e32 v15, v2, v31
	v_fma_f32 v14, v2, v30, -v0
	v_fmac_f32_e32 v15, v3, v30
	ds_read2_b64 v[0:3], v162 offset0:128 offset1:224
	s_clause 0x1
	global_load_dwordx2 v[231:232], v[4:5], off offset:432
	global_load_dwordx4 v[40:43], v[4:5], off offset:416
	s_waitcnt lgkmcnt(0)
	v_mul_f32_e32 v9, v1, v35
	v_mul_f32_e32 v10, v0, v35
	v_fma_f32 v9, v0, v34, -v9
	v_fmac_f32_e32 v10, v1, v34
	v_add_f32_e32 v137, v6, v9
	v_sub_f32_e32 v135, v7, v10
	v_sub_f32_e32 v138, v6, v9
	s_waitcnt vmcnt(0)
	v_mul_f32_e32 v0, v3, v43
	v_mul_f32_e32 v17, v2, v43
	v_fma_f32 v16, v2, v42, -v0
	v_mul_u32_u24_sdwa v0, v36, v11 dst_sel:DWORD dst_unused:UNUSED_PAD src0_sel:WORD_0 src1_sel:DWORD
	v_fmac_f32_e32 v17, v3, v42
	v_lshrrev_b32_e32 v18, 21, v0
	v_mul_lo_u16 v0, v18, 60
	v_sub_nc_u16 v19, v36, v0
	v_mul_lo_u16 v0, v19, 40
	v_mad_u16 v18, 0x168, v18, v19
	v_and_b32_e32 v0, 0xffff, v0
	v_lshlrev_b32_sdwa v18, v88, v18 dst_sel:DWORD dst_unused:UNUSED_PAD src0_sel:DWORD src1_sel:WORD_0
	v_add_co_u32 v4, s8, s10, v0
	ds_read2_b64 v[0:3], v85 offset0:64 offset1:160
	v_add_co_ci_u32_e64 v5, null, s11, 0, s8
	s_waitcnt lgkmcnt(0)
	v_mul_f32_e32 v36, v1, v29
	v_mul_f32_e32 v92, v0, v29
	v_fma_f32 v91, v0, v28, -v36
	s_clause 0x1
	global_load_dwordx4 v[36:39], v[4:5], off offset:400
	global_load_dwordx4 v[48:51], v[4:5], off offset:416
	v_fmac_f32_e32 v92, v1, v28
	global_load_dwordx2 v[215:216], v[4:5], off offset:432
	s_waitcnt vmcnt(2)
	v_mul_f32_e32 v0, v3, v37
	v_mul_f32_e32 v94, v2, v37
	v_fma_f32 v93, v2, v36, -v0
	v_fmac_f32_e32 v94, v3, v36
	ds_read2_b64 v[0:3], v87 offset1:96
	s_waitcnt lgkmcnt(0)
	v_mul_f32_e32 v44, v1, v41
	v_mul_f32_e32 v96, v0, v41
	s_waitcnt vmcnt(1)
	v_mul_f32_e32 v98, v2, v49
	v_fma_f32 v95, v0, v40, -v44
	v_mul_f32_e32 v0, v3, v49
	v_fmac_f32_e32 v96, v1, v40
	v_fmac_f32_e32 v98, v3, v48
	v_fma_f32 v97, v2, v48, -v0
	v_mul_u32_u24_sdwa v0, v89, v11 dst_sel:DWORD dst_unused:UNUSED_PAD src0_sel:WORD_0 src1_sel:DWORD
	v_lshrrev_b32_e32 v99, 21, v0
	v_mul_lo_u16 v0, v99, 60
	v_sub_nc_u16 v100, v89, v0
	v_mul_lo_u16 v0, v100, 40
	v_and_b32_e32 v4, 0xffff, v0
	ds_read2_b64 v[0:3], v81 offset0:64 offset1:160
	v_add_co_u32 v4, s8, s10, v4
	s_waitcnt lgkmcnt(0)
	v_mul_f32_e32 v5, v1, v232
	v_mul_f32_e32 v102, v0, v232
	s_waitcnt vmcnt(0)
	v_mul_f32_e32 v104, v2, v216
	v_fma_f32 v101, v0, v231, -v5
	v_add_co_ci_u32_e64 v5, null, s11, 0, s8
	v_mul_f32_e32 v0, v3, v216
	v_fmac_f32_e32 v102, v1, v231
	v_fmac_f32_e32 v104, v3, v215
	global_load_dwordx4 v[44:47], v[4:5], off offset:400
	v_fma_f32 v103, v2, v215, -v0
	ds_read2_b64 v[0:3], v84 offset0:128 offset1:224
	s_waitcnt lgkmcnt(0)
	v_mul_f32_e32 v11, v1, v39
	v_mul_f32_e32 v106, v0, v39
	v_fma_f32 v105, v0, v38, -v11
	v_fmac_f32_e32 v106, v1, v38
	s_waitcnt vmcnt(0)
	v_mul_f32_e32 v0, v3, v47
	v_mul_f32_e32 v108, v2, v47
	v_fma_f32 v107, v2, v46, -v0
	v_fmac_f32_e32 v108, v3, v46
	ds_read2_b64 v[0:3], v223 offset0:64 offset1:160
	s_clause 0x1
	global_load_dwordx2 v[213:214], v[4:5], off offset:432
	global_load_dwordx4 v[56:59], v[4:5], off offset:416
	buffer_store_dword v136, off, s[20:23], 0 offset:268 ; 4-byte Folded Spill
	s_waitcnt lgkmcnt(0)
	v_mul_f32_e32 v11, v1, v51
	v_mul_f32_e32 v110, v0, v51
	v_fma_f32 v109, v0, v50, -v11
	v_fmac_f32_e32 v110, v1, v50
	s_waitcnt vmcnt(0)
	v_mul_f32_e32 v0, v3, v59
	v_mul_f32_e32 v112, v2, v59
	v_fma_f32 v111, v2, v58, -v0
	v_mul_u32_u24_e32 v0, 0x8889, v136
	v_fmac_f32_e32 v112, v3, v58
	v_lshrrev_b32_e32 v113, 21, v0
	v_mul_lo_u16 v0, v113, 60
	v_sub_nc_u16 v114, v136, v0
	v_mul_lo_u16 v0, v114, 40
	v_and_b32_e32 v0, 0xffff, v0
	v_add_co_u32 v4, s8, s10, v0
	v_add_co_ci_u32_e64 v5, null, s11, 0, s8
	ds_read2_b64 v[0:3], v255 offset1:96
	s_clause 0x1
	global_load_dwordx4 v[52:55], v[4:5], off offset:400
	global_load_dwordx4 v[60:63], v[4:5], off offset:416
	s_waitcnt lgkmcnt(0)
	v_mul_f32_e32 v11, v1, v45
	v_mul_f32_e32 v116, v0, v45
	v_fma_f32 v115, v0, v44, -v11
	v_fmac_f32_e32 v116, v1, v44
	s_waitcnt vmcnt(1)
	v_mul_f32_e32 v0, v3, v53
	v_mul_f32_e32 v118, v2, v53
	v_fma_f32 v117, v2, v52, -v0
	v_fmac_f32_e32 v118, v3, v52
	ds_read2_b64 v[0:3], v155 offset0:64 offset1:160
	s_waitcnt lgkmcnt(0)
	v_mul_f32_e32 v11, v3, v33
	v_mul_f32_e32 v119, v2, v33
	v_mul_f32_e32 v121, v0, v55
	v_fma_f32 v11, v2, v32, -v11
	v_mul_f32_e32 v2, v1, v55
	v_fmac_f32_e32 v119, v3, v32
	v_fmac_f32_e32 v121, v1, v54
	v_fma_f32 v120, v0, v54, -v2
	ds_read2_b64 v[0:3], v210 offset0:64 offset1:160
	s_waitcnt lgkmcnt(0)
	v_mul_f32_e32 v122, v1, v57
	v_mul_f32_e32 v123, v0, v57
	s_waitcnt vmcnt(0)
	v_mul_f32_e32 v125, v2, v61
	v_fma_f32 v122, v0, v56, -v122
	v_mul_f32_e32 v0, v3, v61
	v_fmac_f32_e32 v123, v1, v56
	v_fmac_f32_e32 v125, v3, v60
	v_fma_f32 v124, v2, v60, -v0
	ds_read2_b64 v[0:3], v196 offset1:96
	buffer_store_dword v128, off, s[20:23], 0 offset:464 ; 4-byte Folded Spill
	buffer_store_dword v129, off, s[20:23], 0 offset:468 ; 4-byte Folded Spill
	global_load_dwordx2 v[188:189], v[4:5], off offset:432
	s_waitcnt lgkmcnt(0)
	v_mul_f32_e32 v126, v3, v129
	v_mul_f32_e32 v127, v2, v129
	;; [unrolled: 1-line block ×3, first 2 shown]
	v_fma_f32 v126, v2, v128, -v126
	v_mul_f32_e32 v2, v1, v63
	v_fmac_f32_e32 v127, v3, v128
	v_fmac_f32_e32 v129, v1, v62
	v_sub_f32_e32 v147, v11, v126
	v_fma_f32 v128, v0, v62, -v2
	ds_read2_b64 v[0:3], v163 offset0:128 offset1:224
	s_waitcnt lgkmcnt(0)
	v_mul_f32_e32 v4, v1, v214
	v_mul_f32_e32 v131, v0, v214
	s_waitcnt vmcnt(0)
	v_mul_f32_e32 v133, v2, v189
	v_fma_f32 v130, v0, v213, -v4
	v_mul_f32_e32 v0, v3, v189
	v_fmac_f32_e32 v131, v1, v213
	v_fmac_f32_e32 v133, v3, v188
	v_fma_f32 v132, v2, v188, -v0
	ds_read2_b64 v[0:3], v140 offset1:96
	s_waitcnt lgkmcnt(0)
	v_add_f32_e32 v4, v1, v7
	v_fma_f32 v137, -0.5, v137, v0
	v_add_f32_e32 v134, v4, v10
	v_add_f32_e32 v4, v0, v6
	;; [unrolled: 1-line block ×3, first 2 shown]
	v_fmamk_f32 v158, v135, 0x3f5db3d7, v137
	v_fmac_f32_e32 v137, 0xbf5db3d7, v135
	v_add_f32_e32 v136, v4, v9
	ds_read2_b64 v[4:7], v80 offset0:128 offset1:224
	v_add_f32_e32 v9, v119, v127
	v_fma_f32 v157, -0.5, v10, v1
	v_fmamk_f32 v159, v138, 0xbf5db3d7, v157
	v_fmac_f32_e32 v157, 0x3f5db3d7, v138
	s_waitcnt lgkmcnt(0)
	v_mul_f32_e32 v139, v6, v25
	v_fmac_f32_e32 v139, v7, v24
	v_mul_f32_e32 v7, v7, v25
	v_add_f32_e32 v145, v139, v119
	v_fma_f32 v146, v6, v24, -v7
	v_add_f32_e32 v7, v11, v126
	v_fmac_f32_e32 v139, -0.5, v9
	v_sub_f32_e32 v119, v119, v127
	v_add_f32_e32 v127, v145, v127
	v_add_f32_e32 v6, v146, v11
	v_fmac_f32_e32 v146, -0.5, v7
	v_add_f32_e32 v1, v134, v127
	v_add_f32_e32 v126, v6, v126
	v_fmamk_f32 v6, v147, 0xbf5db3d7, v139
	v_fmamk_f32 v7, v119, 0x3f5db3d7, v146
	v_fmac_f32_e32 v146, 0xbf5db3d7, v119
	v_fmac_f32_e32 v139, 0x3f5db3d7, v147
	v_add_f32_e32 v0, v136, v126
	v_mul_f32_e32 v145, 0x3f5db3d7, v6
	v_mul_f32_e32 v148, 0xbf5db3d7, v7
	v_mul_f32_e32 v119, -0.5, v146
	v_fmac_f32_e32 v145, 0.5, v7
	v_fmac_f32_e32 v148, 0.5, v6
	v_cndmask_b32_e64 v6, 0, 0x168, vcc_lo
	v_fmac_f32_e32 v119, 0x3f5db3d7, v139
	v_add_f32_e32 v10, v158, v145
	v_add_f32_e32 v11, v159, v148
	v_add_lshl_u32 v167, v8, v6, 3
	ds_read2_b64 v[6:9], v82 offset0:64 offset1:160
	s_waitcnt lgkmcnt(0)
	s_waitcnt_vscnt null, 0x0
	s_barrier
	buffer_gl0_inv
	ds_write2_b64 v167, v[0:1], v[10:11] offset1:60
	v_sub_f32_e32 v0, v136, v126
	v_mul_f32_e32 v126, -0.5, v139
	v_sub_f32_e32 v1, v134, v127
	v_add_f32_e32 v10, v137, v119
	buffer_store_dword v18, off, s[20:23], 0 offset:344 ; 4-byte Folded Spill
	buffer_store_dword v167, off, s[20:23], 0 offset:352 ; 4-byte Folded Spill
	v_fmac_f32_e32 v126, 0xbf5db3d7, v146
	v_mov_b32_e32 v146, v155
	v_add_f32_e32 v11, v157, v126
	ds_write2_b64 v167, v[10:11], v[0:1] offset0:120 offset1:180
	v_sub_f32_e32 v0, v158, v145
	v_sub_f32_e32 v1, v159, v148
	;; [unrolled: 1-line block ×4, first 2 shown]
	v_add_nc_u32_e32 v119, 0x400, v167
	v_add_nc_u32_e32 v145, 0xc00, v140
	ds_write2_b64 v119, v[0:1], v[10:11] offset0:112 offset1:172
	v_add_f32_e32 v0, v3, v15
	v_add_f32_e32 v1, v15, v17
	v_sub_f32_e32 v15, v15, v17
	v_add_f32_e32 v11, v96, v102
	buffer_store_dword v119, off, s[20:23], 0 offset:340 ; 4-byte Folded Spill
	v_add_f32_e32 v17, v0, v17
	v_fmac_f32_e32 v3, -0.5, v1
	v_add_f32_e32 v0, v2, v14
	v_add_f32_e32 v1, v95, v101
	;; [unrolled: 1-line block ×3, first 2 shown]
	v_sub_f32_e32 v95, v95, v101
	v_add_f32_e32 v119, v0, v16
	v_add_f32_e32 v0, v14, v16
	v_sub_f32_e32 v14, v14, v16
	v_fmac_f32_e32 v91, -0.5, v1
	v_add_f32_e32 v1, v92, v96
	v_sub_f32_e32 v16, v96, v102
	v_fmac_f32_e32 v92, -0.5, v11
	v_fma_f32 v2, -0.5, v0, v2
	v_fmamk_f32 v126, v14, 0xbf5db3d7, v3
	v_add_f32_e32 v96, v1, v102
	v_add_f32_e32 v102, v10, v101
	v_mov_b32_e32 v1, 0x168
	v_fmamk_f32 v10, v95, 0xbf5db3d7, v92
	v_fmamk_f32 v11, v16, 0x3f5db3d7, v91
	v_fmac_f32_e32 v91, 0xbf5db3d7, v16
	v_fmac_f32_e32 v92, 0x3f5db3d7, v95
	v_mul_u32_u24_sdwa v1, v12, v1 dst_sel:DWORD dst_unused:UNUSED_PAD src0_sel:WORD_0 src1_sel:DWORD
	v_mul_f32_e32 v12, 0x3f5db3d7, v10
	v_mul_f32_e32 v101, 0xbf5db3d7, v11
	v_fmac_f32_e32 v3, 0x3f5db3d7, v14
	v_mul_f32_e32 v14, -0.5, v91
	v_add_lshl_u32 v127, v1, v13, 3
	v_fmac_f32_e32 v12, 0.5, v11
	v_fmac_f32_e32 v101, 0.5, v10
	v_fmamk_f32 v13, v15, 0x3f5db3d7, v2
	v_fmac_f32_e32 v2, 0xbf5db3d7, v15
	v_mul_f32_e32 v15, -0.5, v92
	v_add_f32_e32 v0, v119, v102
	v_add_f32_e32 v1, v17, v96
	;; [unrolled: 1-line block ×4, first 2 shown]
	v_fmac_f32_e32 v14, 0x3f5db3d7, v92
	v_fmac_f32_e32 v15, 0xbf5db3d7, v91
	buffer_store_dword v127, off, s[20:23], 0 offset:348 ; 4-byte Folded Spill
	ds_write2_b64 v127, v[0:1], v[10:11] offset1:60
	v_sub_f32_e32 v0, v119, v102
	v_sub_f32_e32 v1, v17, v96
	v_add_f32_e32 v10, v2, v14
	v_add_f32_e32 v11, v3, v15
	v_sub_f32_e32 v17, v98, v104
	ds_write2_b64 v127, v[10:11], v[0:1] offset0:120 offset1:180
	v_sub_f32_e32 v1, v3, v15
	v_sub_f32_e32 v0, v2, v14
	;; [unrolled: 1-line block ×4, first 2 shown]
	v_add_nc_u32_e32 v10, 0x400, v127
	v_sub_f32_e32 v11, v97, v103
	v_sub_f32_e32 v13, v106, v110
	;; [unrolled: 1-line block ×3, first 2 shown]
	ds_write2_b64 v10, v[2:3], v[0:1] offset0:112 offset1:172
	v_add_f32_e32 v0, v98, v104
	v_add_f32_e32 v1, v94, v98
	buffer_store_dword v10, off, s[20:23], 0 offset:332 ; 4-byte Folded Spill
	v_add_f32_e32 v2, v7, v106
	v_add_f32_e32 v3, v6, v105
	v_fmac_f32_e32 v94, -0.5, v0
	v_add_f32_e32 v0, v93, v97
	v_add_f32_e32 v16, v1, v104
	;; [unrolled: 1-line block ×8, first 2 shown]
	v_fma_f32 v7, -0.5, v2, v7
	v_fmac_f32_e32 v93, -0.5, v0
	v_fmamk_f32 v0, v11, 0xbf5db3d7, v94
	v_fma_f32 v6, -0.5, v3, v6
	v_fmamk_f32 v95, v15, 0xbf5db3d7, v7
	v_fmac_f32_e32 v94, 0x3f5db3d7, v11
	v_fmamk_f32 v1, v17, 0x3f5db3d7, v93
	v_mul_f32_e32 v91, 0x3f5db3d7, v0
	v_fmamk_f32 v19, v13, 0x3f5db3d7, v6
	v_fmac_f32_e32 v93, 0xbf5db3d7, v17
	v_mul_f32_e32 v11, -0.5, v94
	v_mul_f32_e32 v92, 0xbf5db3d7, v1
	v_fmac_f32_e32 v91, 0.5, v1
	v_add_f32_e32 v1, v12, v16
	v_fmac_f32_e32 v6, 0xbf5db3d7, v13
	v_fmac_f32_e32 v7, 0x3f5db3d7, v15
	v_fmac_f32_e32 v92, 0.5, v0
	v_add_f32_e32 v0, v14, v10
	v_add_f32_e32 v2, v19, v91
	v_fmac_f32_e32 v11, 0xbf5db3d7, v93
	v_sub_f32_e32 v13, v122, v130
	v_add_f32_e32 v3, v95, v92
	v_sub_f32_e32 v15, v123, v131
	ds_write2_b64 v18, v[0:1], v[2:3] offset1:60
	v_sub_f32_e32 v0, v14, v10
	v_mul_f32_e32 v10, -0.5, v93
	v_sub_f32_e32 v1, v12, v16
	v_add_f32_e32 v3, v7, v11
	v_fmac_f32_e32 v10, 0x3f5db3d7, v94
	v_mov_b32_e32 v94, 0x2d83
	v_add_f32_e32 v2, v6, v10
	ds_write2_b64 v18, v[2:3], v[0:1] offset0:120 offset1:180
	v_sub_f32_e32 v0, v19, v91
	v_sub_f32_e32 v1, v95, v92
	;; [unrolled: 1-line block ×4, first 2 shown]
	v_add_nc_u32_e32 v6, 0x400, v18
	v_add_f32_e32 v7, v107, v111
	v_sub_f32_e32 v11, v108, v112
	v_mad_u16 v19, 0x168, v99, v100
	ds_write2_b64 v6, v[0:1], v[2:3] offset0:112 offset1:172
	v_add_f32_e32 v0, v108, v112
	v_add_f32_e32 v1, v9, v108
	v_add_f32_e32 v2, v115, v122
	v_add_f32_e32 v3, v116, v123
	buffer_store_dword v6, off, s[20:23], 0 offset:324 ; 4-byte Folded Spill
	v_fmac_f32_e32 v9, -0.5, v0
	v_add_f32_e32 v0, v122, v130
	v_add_f32_e32 v12, v1, v112
	v_sub_f32_e32 v6, v107, v111
	v_fma_f32 v7, -0.5, v7, v8
	v_add_f32_e32 v14, v2, v130
	v_fmac_f32_e32 v115, -0.5, v0
	v_add_f32_e32 v0, v123, v131
	v_add_f32_e32 v16, v3, v131
	v_fmamk_f32 v91, v6, 0xbf5db3d7, v9
	v_lshlrev_b32_sdwa v19, v88, v19 dst_sel:DWORD dst_unused:UNUSED_PAD src0_sel:DWORD src1_sel:WORD_0
	v_fmamk_f32 v1, v15, 0x3f5db3d7, v115
	v_fmac_f32_e32 v116, -0.5, v0
	v_add_f32_e32 v0, v8, v107
	v_fmamk_f32 v8, v11, 0x3f5db3d7, v7
	v_fmac_f32_e32 v115, 0xbf5db3d7, v15
	v_mul_f32_e32 v18, 0xbf5db3d7, v1
	v_fmac_f32_e32 v9, 0x3f5db3d7, v6
	v_add_f32_e32 v10, v0, v111
	v_fmamk_f32 v0, v13, 0xbf5db3d7, v116
	v_fmac_f32_e32 v116, 0x3f5db3d7, v13
	v_fmac_f32_e32 v7, 0xbf5db3d7, v11
	v_sub_f32_e32 v11, v124, v132
	v_sub_f32_e32 v13, v125, v133
	v_mul_f32_e32 v17, 0x3f5db3d7, v0
	v_fmac_f32_e32 v18, 0.5, v0
	v_add_f32_e32 v0, v10, v14
	v_mul_f32_e32 v6, -0.5, v116
	buffer_store_dword v19, off, s[20:23], 0 offset:336 ; 4-byte Folded Spill
	v_fmac_f32_e32 v17, 0.5, v1
	v_add_f32_e32 v1, v12, v16
	v_add_f32_e32 v3, v91, v18
	v_fmac_f32_e32 v6, 0xbf5db3d7, v115
	v_add_f32_e32 v2, v8, v17
	ds_write2_b64 v19, v[0:1], v[2:3] offset1:60
	v_sub_f32_e32 v0, v10, v14
	v_mul_f32_e32 v10, -0.5, v115
	v_sub_f32_e32 v1, v12, v16
	v_add_f32_e32 v3, v9, v6
	v_fmac_f32_e32 v10, 0x3f5db3d7, v116
	v_add_f32_e32 v2, v7, v10
	ds_write2_b64 v19, v[2:3], v[0:1] offset0:120 offset1:180
	v_sub_f32_e32 v1, v9, v6
	v_sub_f32_e32 v0, v7, v10
	;; [unrolled: 1-line block ×4, first 2 shown]
	v_add_nc_u32_e32 v6, 0x400, v19
	v_add_f32_e32 v7, v120, v128
	v_sub_f32_e32 v9, v121, v129
	v_mad_u16 v17, 0x168, v113, v114
	v_add_co_u32 v91, s8, 0x2a0, v166
	ds_write2_b64 v6, v[2:3], v[0:1] offset0:112 offset1:172
	v_add_f32_e32 v0, v121, v129
	v_add_f32_e32 v1, v5, v121
	;; [unrolled: 1-line block ×4, first 2 shown]
	buffer_store_dword v6, off, s[20:23], 0 offset:320 ; 4-byte Folded Spill
	v_fmac_f32_e32 v5, -0.5, v0
	v_add_f32_e32 v0, v124, v132
	v_add_f32_e32 v10, v1, v129
	v_sub_f32_e32 v6, v120, v128
	v_add_f32_e32 v12, v2, v132
	v_add_f32_e32 v14, v3, v133
	v_fmac_f32_e32 v117, -0.5, v0
	v_add_f32_e32 v0, v125, v133
	v_fmamk_f32 v18, v6, 0xbf5db3d7, v5
	v_lshlrev_b32_sdwa v17, v88, v17 dst_sel:DWORD dst_unused:UNUSED_PAD src0_sel:DWORD src1_sel:WORD_0
	v_fmac_f32_e32 v5, 0x3f5db3d7, v6
	v_fmamk_f32 v1, v13, 0x3f5db3d7, v117
	v_fmac_f32_e32 v118, -0.5, v0
	v_add_f32_e32 v0, v4, v120
	v_fma_f32 v4, -0.5, v7, v4
	v_fmac_f32_e32 v117, 0xbf5db3d7, v13
	v_mul_f32_e32 v16, 0xbf5db3d7, v1
	v_add_co_ci_u32_e64 v19, null, 0, 0, s8
	v_add_f32_e32 v8, v0, v128
	v_fmamk_f32 v0, v11, 0xbf5db3d7, v118
	v_fmamk_f32 v7, v9, 0x3f5db3d7, v4
	v_fmac_f32_e32 v118, 0x3f5db3d7, v11
	v_fmac_f32_e32 v4, 0xbf5db3d7, v9
	buffer_store_dword v17, off, s[20:23], 0 offset:328 ; 4-byte Folded Spill
	v_mul_f32_e32 v15, 0x3f5db3d7, v0
	v_fmac_f32_e32 v16, 0.5, v0
	v_add_f32_e32 v0, v8, v12
	v_mul_f32_e32 v6, -0.5, v118
	v_fmac_f32_e32 v15, 0.5, v1
	v_add_f32_e32 v1, v10, v14
	v_add_f32_e32 v3, v18, v16
	v_fmac_f32_e32 v6, 0xbf5db3d7, v117
	v_add_f32_e32 v2, v7, v15
	ds_write2_b64 v17, v[0:1], v[2:3] offset1:60
	v_sub_f32_e32 v0, v8, v12
	v_mul_f32_e32 v8, -0.5, v117
	v_sub_f32_e32 v1, v10, v14
	v_add_f32_e32 v3, v5, v6
	v_fmac_f32_e32 v8, 0x3f5db3d7, v118
	v_add_f32_e32 v2, v4, v8
	ds_write2_b64 v17, v[2:3], v[0:1] offset0:120 offset1:180
	v_sub_f32_e32 v1, v5, v6
	v_sub_f32_e32 v0, v4, v8
	;; [unrolled: 1-line block ×4, first 2 shown]
	v_add_nc_u32_e32 v4, 0x400, v17
	ds_write2_b64 v4, v[2:3], v[0:1] offset0:112 offset1:172
	v_mul_u32_u24_sdwa v0, v91, v94 dst_sel:DWORD dst_unused:UNUSED_PAD src0_sel:WORD_0 src1_sel:DWORD
	buffer_store_dword v4, off, s[20:23], 0 offset:316 ; 4-byte Folded Spill
	s_waitcnt lgkmcnt(0)
	s_waitcnt_vscnt null, 0x0
	s_barrier
	buffer_gl0_inv
	v_lshrrev_b32_e32 v136, 22, v0
	v_mul_lo_u16 v0, 0x168, v136
	v_sub_nc_u16 v137, v91, v0
	v_lshlrev_b32_sdwa v0, v88, v137 dst_sel:DWORD dst_unused:UNUSED_PAD src0_sel:DWORD src1_sel:WORD_0
	v_add_co_u32 v0, s8, s10, v0
	v_add_co_ci_u32_e64 v1, null, s11, 0, s8
	v_add_co_u32 v92, s8, s10, v140
	v_add_co_u32 v4, vcc_lo, 0x800, v0
	v_add_co_ci_u32_e64 v93, null, s11, 0, s8
	v_add_co_ci_u32_e32 v5, vcc_lo, 0, v1, vcc_lo
	v_add_co_u32 v6, vcc_lo, 0x800, v92
	v_add_co_ci_u32_e32 v7, vcc_lo, 0, v93, vcc_lo
	v_add_co_u32 v8, vcc_lo, 0x1000, v92
	v_add_co_ci_u32_e32 v9, vcc_lo, 0, v93, vcc_lo
	s_clause 0x2
	global_load_dwordx2 v[178:179], v[6:7], off offset:1520
	global_load_dwordx2 v[206:207], v[6:7], off offset:1712
	;; [unrolled: 1-line block ×3, first 2 shown]
	ds_read2_b64 v[0:3], v87 offset1:96
	s_clause 0x2
	global_load_dwordx2 v[208:209], v[4:5], off offset:752
	global_load_dwordx2 v[176:177], v[8:9], off offset:240
	;; [unrolled: 1-line block ×3, first 2 shown]
	v_cmp_gt_u16_e32 vcc_lo, 0x48, v83
	global_load_dwordx2 v[245:246], v[6:7], off offset:752
	v_add_co_u32 v5, null, 0x420, v166
	buffer_store_dword v153, off, s[20:23], 0 offset:292 ; 4-byte Folded Spill
	v_mul_u32_u24_sdwa v6, v5, v94 dst_sel:DWORD dst_unused:UNUSED_PAD src0_sel:WORD_0 src1_sel:DWORD
	v_lshrrev_b32_e32 v138, 22, v6
	v_mul_lo_u16 v6, 0x168, v138
	v_sub_nc_u16 v139, v5, v6
	v_lshlrev_b32_sdwa v6, v88, v139 dst_sel:DWORD dst_unused:UNUSED_PAD src0_sel:DWORD src1_sel:WORD_0
	s_waitcnt vmcnt(6) lgkmcnt(0)
	v_mul_f32_e32 v10, v1, v179
	v_mul_f32_e32 v13, v0, v179
	s_waitcnt vmcnt(2)
	v_mul_f32_e32 v18, v2, v177
	v_fma_f32 v12, v0, v178, -v10
	v_mul_f32_e32 v0, v3, v177
	v_fmac_f32_e32 v13, v1, v178
	v_fmac_f32_e32 v18, v3, v176
	v_fma_f32 v17, v2, v176, -v0
	v_add_co_u32 v0, s8, 0xffffffb8, v166
	v_add_co_ci_u32_e64 v1, null, 0, -1, s8
	v_cndmask_b32_e32 v10, v0, v89, vcc_lo
	v_cndmask_b32_e32 v11, v1, v90, vcc_lo
	v_lshlrev_b64 v[0:1], 3, v[10:11]
	v_add_co_u32 v0, vcc_lo, s10, v0
	v_add_co_ci_u32_e32 v1, vcc_lo, s11, v1, vcc_lo
	v_add_co_u32 v0, vcc_lo, 0x800, v0
	v_add_co_ci_u32_e32 v1, vcc_lo, 0, v1, vcc_lo
	global_load_dwordx2 v[235:236], v[0:1], off offset:752
	ds_read2_b64 v[0:3], v210 offset0:64 offset1:160
	s_waitcnt lgkmcnt(0)
	v_mul_f32_e32 v99, v2, v187
	v_fmac_f32_e32 v99, v3, v186
	s_waitcnt vmcnt(0)
	v_mul_f32_e32 v4, v1, v236
	v_mul_f32_e32 v90, v0, v236
	v_fma_f32 v89, v0, v235, -v4
	v_mul_f32_e32 v0, v3, v187
	v_fmac_f32_e32 v90, v1, v235
	v_fma_f32 v98, v2, v186, -v0
	ds_read2_b64 v[0:3], v162 offset0:128 offset1:224
	s_waitcnt lgkmcnt(0)
	v_mul_f32_e32 v4, v1, v207
	v_mul_f32_e32 v101, v0, v207
	;; [unrolled: 1-line block ×3, first 2 shown]
	v_fma_f32 v100, v0, v206, -v4
	v_mul_f32_e32 v0, v3, v198
	v_fmac_f32_e32 v107, v3, v197
	v_fmac_f32_e32 v101, v1, v206
	v_fma_f32 v106, v2, v197, -v0
	v_add_nc_u32_e32 v2, 0x360, v166
	v_mul_u32_u24_e32 v0, 0x2d83, v153
	v_mul_u32_u24_sdwa v3, v2, v94 dst_sel:DWORD dst_unused:UNUSED_PAD src0_sel:WORD_0 src1_sel:DWORD
	v_lshrrev_b32_e32 v0, 22, v0
	v_lshrrev_b32_e32 v3, 22, v3
	v_mul_lo_u16 v0, 0x168, v0
	v_mul_lo_u16 v3, 0x168, v3
	v_sub_nc_u16 v0, v153, v0
	v_sub_nc_u16 v2, v2, v3
	v_add_nc_u32_e32 v3, 0x3c0, v166
	v_lshlrev_b32_sdwa v147, v88, v0 dst_sel:DWORD dst_unused:UNUSED_PAD src0_sel:DWORD src1_sel:WORD_0
	v_lshlrev_b32_sdwa v148, v88, v2 dst_sel:DWORD dst_unused:UNUSED_PAD src0_sel:DWORD src1_sel:WORD_0
	v_mul_u32_u24_sdwa v4, v3, v94 dst_sel:DWORD dst_unused:UNUSED_PAD src0_sel:WORD_0 src1_sel:DWORD
	v_add_co_u32 v0, s8, s10, v147
	v_add_co_ci_u32_e64 v1, null, s11, 0, s8
	v_lshrrev_b32_e32 v4, 22, v4
	v_add_co_u32 v2, s8, s10, v148
	v_add_co_u32 v0, vcc_lo, 0x800, v0
	v_mul_lo_u16 v4, 0x168, v4
	v_add_co_ci_u32_e32 v1, vcc_lo, 0, v1, vcc_lo
	v_add_co_u32 v2, vcc_lo, 0x800, v2
	v_sub_nc_u16 v4, v3, v4
	v_add_co_ci_u32_e64 v3, null, s11, 0, s8
	v_lshlrev_b32_sdwa v153, v88, v4 dst_sel:DWORD dst_unused:UNUSED_PAD src0_sel:DWORD src1_sel:WORD_0
	v_add_co_ci_u32_e32 v3, vcc_lo, 0, v3, vcc_lo
	v_add_co_u32 v4, s8, s10, v153
	v_add_co_ci_u32_e64 v5, null, s11, 0, s8
	v_add_co_u32 v6, s8, s10, v6
	v_add_co_u32 v4, vcc_lo, 0x800, v4
	v_add_co_ci_u32_e32 v5, vcc_lo, 0, v5, vcc_lo
	s_clause 0x2
	global_load_dwordx2 v[172:173], v[0:1], off offset:752
	global_load_dwordx2 v[174:175], v[2:3], off offset:752
	;; [unrolled: 1-line block ×3, first 2 shown]
	ds_read2_b64 v[0:3], v223 offset0:64 offset1:160
	buffer_store_dword v156, off, s[20:23], 0 offset:300 ; 4-byte Folded Spill
	v_add_co_ci_u32_e64 v7, null, s11, 0, s8
	v_add_co_u32 v6, vcc_lo, 0x800, v6
	buffer_store_dword v166, off, s[20:23], 0 offset:312 ; 4-byte Folded Spill
	v_add_co_ci_u32_e32 v7, vcc_lo, 0, v7, vcc_lo
	global_load_dwordx2 v[180:181], v[6:7], off offset:752
	s_waitcnt lgkmcnt(0)
	v_mul_f32_e32 v4, v1, v209
	v_mul_f32_e32 v109, v0, v209
	v_fma_f32 v108, v0, v208, -v4
	v_fmac_f32_e32 v109, v1, v208
	s_waitcnt vmcnt(3)
	v_mul_f32_e32 v0, v3, v173
	v_mul_f32_e32 v115, v2, v173
	v_fma_f32 v114, v2, v172, -v0
	v_fmac_f32_e32 v115, v3, v172
	ds_read2_b64 v[0:3], v196 offset1:96
	s_waitcnt vmcnt(2) lgkmcnt(0)
	v_mul_f32_e32 v4, v1, v175
	v_mul_f32_e32 v117, v0, v175
	s_waitcnt vmcnt(1)
	v_mul_f32_e32 v123, v2, v183
	v_fma_f32 v116, v0, v174, -v4
	v_mul_f32_e32 v0, v3, v183
	v_fmac_f32_e32 v123, v3, v182
	v_fmac_f32_e32 v117, v1, v174
	v_fma_f32 v122, v2, v182, -v0
	v_add_nc_u32_e32 v2, 0x4e0, v166
	v_mul_u32_u24_e32 v0, 0x2d83, v156
	v_mul_u32_u24_sdwa v3, v2, v94 dst_sel:DWORD dst_unused:UNUSED_PAD src0_sel:WORD_0 src1_sel:DWORD
	v_lshrrev_b32_e32 v0, 22, v0
	v_lshrrev_b32_e32 v3, 22, v3
	v_mul_lo_u16 v0, 0x168, v0
	v_mul_lo_u16 v3, 0x168, v3
	v_sub_nc_u16 v0, v156, v0
	v_sub_nc_u16 v2, v2, v3
	v_add_nc_u32_e32 v3, 0x540, v166
	v_lshlrev_b32_sdwa v156, v88, v0 dst_sel:DWORD dst_unused:UNUSED_PAD src0_sel:DWORD src1_sel:WORD_0
	v_lshlrev_b32_sdwa v205, v88, v2 dst_sel:DWORD dst_unused:UNUSED_PAD src0_sel:DWORD src1_sel:WORD_0
	v_mul_u32_u24_sdwa v4, v3, v94 dst_sel:DWORD dst_unused:UNUSED_PAD src0_sel:WORD_0 src1_sel:DWORD
	v_add_co_u32 v0, s8, s10, v156
	v_add_co_ci_u32_e64 v1, null, s11, 0, s8
	v_lshrrev_b32_e32 v4, 22, v4
	v_add_co_u32 v2, s8, s10, v205
	v_add_co_u32 v0, vcc_lo, 0x800, v0
	v_mul_lo_u16 v4, 0x168, v4
	v_add_co_ci_u32_e32 v1, vcc_lo, 0, v1, vcc_lo
	v_add_co_u32 v2, vcc_lo, 0x800, v2
	v_sub_nc_u16 v4, v3, v4
	v_add_co_ci_u32_e64 v3, null, s11, 0, s8
	v_lshlrev_b32_sdwa v159, v88, v4 dst_sel:DWORD dst_unused:UNUSED_PAD src0_sel:DWORD src1_sel:WORD_0
	v_add_co_ci_u32_e32 v3, vcc_lo, 0, v3, vcc_lo
	v_add_co_u32 v4, s8, s10, v159
	v_add_co_ci_u32_e64 v5, null, s11, 0, s8
	v_add_co_u32 v4, vcc_lo, 0x800, v4
	v_add_co_ci_u32_e32 v5, vcc_lo, 0, v5, vcc_lo
	s_clause 0x2
	global_load_dwordx2 v[157:158], v[0:1], off offset:752
	global_load_dwordx2 v[217:218], v[2:3], off offset:752
	global_load_dwordx2 v[224:225], v[4:5], off offset:752
	ds_read2_b64 v[0:3], v81 offset0:64 offset1:160
	v_cmp_lt_u16_e32 vcc_lo, 0x47, v83
	s_waitcnt vmcnt(3) lgkmcnt(0)
	v_mul_f32_e32 v4, v1, v181
	v_mul_f32_e32 v125, v0, v181
	v_fma_f32 v124, v0, v180, -v4
	v_fmac_f32_e32 v125, v1, v180
	s_waitcnt vmcnt(2)
	v_mul_f32_e32 v0, v3, v158
	v_mul_f32_e32 v131, v2, v158
	v_fma_f32 v130, v2, v157, -v0
	v_fmac_f32_e32 v131, v3, v157
	ds_read2_b64 v[0:3], v163 offset0:128 offset1:224
	s_waitcnt vmcnt(1) lgkmcnt(0)
	v_mul_f32_e32 v4, v1, v218
	v_mul_f32_e32 v133, v0, v218
	s_waitcnt vmcnt(0)
	v_mul_f32_e32 v135, v2, v225
	v_fma_f32 v132, v0, v217, -v4
	v_mul_f32_e32 v0, v3, v225
	v_fmac_f32_e32 v133, v1, v217
	v_fmac_f32_e32 v135, v3, v224
	v_fma_f32 v134, v2, v224, -v0
	ds_read2_b64 v[0:3], v155 offset0:64 offset1:160
	v_mov_b32_e32 v155, v184
	s_waitcnt lgkmcnt(0)
	v_mul_f32_e32 v4, v3, v246
	v_mul_f32_e32 v7, v2, v246
	v_sub_f32_e32 v134, v0, v134
	v_sub_f32_e32 v135, v1, v135
	v_fma_f32 v6, v2, v245, -v4
	v_fmac_f32_e32 v7, v3, v245
	ds_read2_b64 v[2:5], v140 offset1:96
	v_fma_f32 v0, v0, 2.0, -v134
	v_fma_f32 v1, v1, 2.0, -v135
	s_waitcnt lgkmcnt(0)
	v_sub_f32_e32 v6, v2, v6
	v_sub_f32_e32 v7, v3, v7
	v_sub_f32_e32 v11, v4, v12
	v_sub_f32_e32 v12, v5, v13
	v_fma_f32 v13, v2, 2.0, -v6
	v_fma_f32 v14, v3, 2.0, -v7
	v_fma_f32 v15, v4, 2.0, -v11
	v_fma_f32 v16, v5, 2.0, -v12
	ds_read2_b64 v[2:5], v82 offset0:64 offset1:160
	s_waitcnt lgkmcnt(0)
	v_sub_f32_e32 v17, v2, v17
	v_sub_f32_e32 v18, v3, v18
	v_sub_f32_e32 v89, v4, v89
	v_sub_f32_e32 v90, v5, v90
	v_fma_f32 v94, v2, 2.0, -v17
	v_fma_f32 v95, v3, 2.0, -v18
	v_fma_f32 v96, v4, 2.0, -v89
	v_fma_f32 v97, v5, 2.0, -v90
	ds_read2_b64 v[2:5], v80 offset0:128 offset1:224
	s_waitcnt lgkmcnt(0)
	v_sub_f32_e32 v98, v2, v98
	v_sub_f32_e32 v99, v3, v99
	v_sub_f32_e32 v100, v4, v100
	v_sub_f32_e32 v101, v5, v101
	v_fma_f32 v102, v2, 2.0, -v98
	v_fma_f32 v103, v3, 2.0, -v99
	v_fma_f32 v104, v4, 2.0, -v100
	v_fma_f32 v105, v5, 2.0, -v101
	ds_read2_b64 v[2:5], v85 offset0:64 offset1:160
	s_waitcnt lgkmcnt(0)
	v_sub_f32_e32 v106, v2, v106
	v_sub_f32_e32 v107, v3, v107
	;; [unrolled: 1-line block ×4, first 2 shown]
	v_fma_f32 v110, v2, 2.0, -v106
	v_fma_f32 v111, v3, 2.0, -v107
	;; [unrolled: 1-line block ×4, first 2 shown]
	ds_read2_b64 v[2:5], v255 offset1:96
	s_waitcnt lgkmcnt(0)
	v_sub_f32_e32 v114, v2, v114
	v_sub_f32_e32 v115, v3, v115
	;; [unrolled: 1-line block ×4, first 2 shown]
	v_fma_f32 v118, v2, 2.0, -v114
	v_fma_f32 v119, v3, 2.0, -v115
	;; [unrolled: 1-line block ×4, first 2 shown]
	ds_read2_b64 v[2:5], v184 offset0:64 offset1:160
	s_waitcnt lgkmcnt(0)
	v_sub_f32_e32 v122, v2, v122
	v_sub_f32_e32 v123, v3, v123
	;; [unrolled: 1-line block ×4, first 2 shown]
	v_fma_f32 v126, v2, 2.0, -v122
	v_fma_f32 v127, v3, 2.0, -v123
	;; [unrolled: 1-line block ×4, first 2 shown]
	ds_read2_b64 v[2:5], v84 offset0:128 offset1:224
	s_waitcnt lgkmcnt(0)
	s_waitcnt_vscnt null, 0x0
	s_barrier
	buffer_gl0_inv
	ds_write_b64 v140, v[6:7] offset:2880
	ds_write2_b64 v140, v[13:14], v[15:16] offset1:96
	ds_write_b64 v140, v[94:95] offset:1536
	v_cndmask_b32_e64 v6, 0, 0x2d0, vcc_lo
	ds_write2_b64 v145, v[11:12], v[17:18] offset0:72 offset1:168
	v_add_lshl_u32 v6, v10, v6, 3
	buffer_store_dword v6, off, s[20:23], 0 offset:472 ; 4-byte Folded Spill
	ds_write_b64 v6, v[96:97]
	ds_write_b64 v6, v[89:90] offset:2880
	v_mad_u16 v6, 0x2d0, v136, v137
	ds_write2_b64 v191, v[102:103], v[104:105] offset0:104 offset1:200
	ds_write2_b64 v184, v[110:111], v[98:99] offset0:40 offset1:208
	;; [unrolled: 1-line block ×3, first 2 shown]
	v_sub_f32_e32 v130, v2, v130
	v_sub_f32_e32 v131, v3, v131
	v_lshlrev_b32_sdwa v6, v88, v6 dst_sel:DWORD dst_unused:UNUSED_PAD src0_sel:DWORD src1_sel:WORD_0
	v_sub_f32_e32 v132, v4, v132
	v_sub_f32_e32 v133, v5, v133
	v_fma_f32 v2, v2, 2.0, -v130
	v_fma_f32 v3, v3, 2.0, -v131
	buffer_store_dword v6, off, s[20:23], 0 offset:460 ; 4-byte Folded Spill
	ds_write_b64 v6, v[112:113]
	ds_write_b64 v6, v[108:109] offset:2880
	v_mad_u16 v6, 0x2d0, v138, v139
	v_fma_f32 v4, v4, 2.0, -v132
	v_fma_f32 v5, v5, 2.0, -v133
	buffer_store_dword v147, off, s[20:23], 0 offset:448 ; 4-byte Folded Spill
	ds_write_b64 v147, v[118:119] offset:11520
	ds_write_b64 v147, v[114:115] offset:14400
	v_lshlrev_b32_sdwa v6, v88, v6 dst_sel:DWORD dst_unused:UNUSED_PAD src0_sel:DWORD src1_sel:WORD_0
	buffer_store_dword v148, off, s[20:23], 0 offset:444 ; 4-byte Folded Spill
	ds_write_b64 v148, v[120:121] offset:11520
	ds_write_b64 v148, v[116:117] offset:14400
	buffer_store_dword v153, off, s[20:23], 0 offset:440 ; 4-byte Folded Spill
	ds_write_b64 v153, v[126:127] offset:11520
	ds_write_b64 v153, v[122:123] offset:14400
	buffer_store_dword v6, off, s[20:23], 0 offset:436 ; 4-byte Folded Spill
	ds_write_b64 v6, v[128:129]
	ds_write_b64 v6, v[124:125] offset:2880
	buffer_store_dword v156, off, s[20:23], 0 offset:432 ; 4-byte Folded Spill
	ds_write_b64 v156, v[2:3] offset:17280
	ds_write_b64 v156, v[130:131] offset:20160
	buffer_store_dword v205, off, s[20:23], 0 offset:428 ; 4-byte Folded Spill
	ds_write_b64 v205, v[4:5] offset:17280
	ds_write_b64 v205, v[132:133] offset:20160
	v_add_co_u32 v4, vcc_lo, 0x1800, v92
	v_add_co_ci_u32_e32 v5, vcc_lo, 0, v93, vcc_lo
	buffer_store_dword v159, off, s[20:23], 0 offset:424 ; 4-byte Folded Spill
	ds_write_b64 v159, v[0:1] offset:17280
	ds_write_b64 v159, v[134:135] offset:20160
	s_waitcnt lgkmcnt(0)
	s_waitcnt_vscnt null, 0x0
	s_barrier
	buffer_gl0_inv
	s_clause 0x2
	global_load_dwordx2 v[10:11], v[4:5], off offset:304
	global_load_dwordx2 v[14:15], v[4:5], off offset:688
	;; [unrolled: 1-line block ×3, first 2 shown]
	ds_read2_b64 v[0:3], v87 offset1:96
	v_mov_b32_e32 v134, v196
	v_mov_b32_e32 v205, v82
	s_waitcnt vmcnt(2) lgkmcnt(0)
	v_mul_f32_e32 v6, v1, v11
	v_fma_f32 v12, v0, v10, -v6
	buffer_store_dword v10, off, s[20:23], 0 offset:544 ; 4-byte Folded Spill
	buffer_store_dword v11, off, s[20:23], 0 offset:548 ; 4-byte Folded Spill
	v_add_co_u32 v6, vcc_lo, 0x2000, v92
	v_add_co_ci_u32_e32 v7, vcc_lo, 0, v93, vcc_lo
	v_mul_f32_e32 v13, v0, v11
	v_fmac_f32_e32 v13, v1, v10
	global_load_dwordx2 v[10:11], v[4:5], off offset:1072
	s_waitcnt vmcnt(0)
	buffer_store_dword v10, off, s[20:23], 0 offset:552 ; 4-byte Folded Spill
	buffer_store_dword v11, off, s[20:23], 0 offset:556 ; 4-byte Folded Spill
	s_clause 0x1
	global_load_dwordx2 v[94:95], v[6:7], off offset:176
	global_load_dwordx2 v[102:103], v[4:5], off offset:1456
	v_mul_f32_e32 v0, v3, v11
	v_mul_f32_e32 v18, v2, v11
	v_fma_f32 v17, v2, v10, -v0
	v_fmac_f32_e32 v18, v3, v10
	global_load_dwordx2 v[10:11], v[4:5], off offset:1840
	s_waitcnt vmcnt(0)
	buffer_store_dword v10, off, s[20:23], 0 offset:536 ; 4-byte Folded Spill
	buffer_store_dword v11, off, s[20:23], 0 offset:540 ; 4-byte Folded Spill
	ds_read2_b64 v[0:3], v210 offset0:64 offset1:160
	s_clause 0x3
	global_load_dwordx2 v[237:238], v[6:7], off offset:560
	global_load_dwordx2 v[100:101], v[6:7], off offset:1712
	;; [unrolled: 1-line block ×4, first 2 shown]
	v_add_co_u32 v6, vcc_lo, 0x2800, v92
	v_add_co_ci_u32_e32 v7, vcc_lo, 0, v93, vcc_lo
	v_cmp_gt_u16_e32 vcc_lo, 48, v83
	s_waitcnt lgkmcnt(0)
	v_mul_f32_e32 v4, v1, v11
	v_mul_f32_e32 v89, v0, v11
	s_waitcnt vmcnt(3)
	v_mul_f32_e32 v97, v2, v238
	v_fma_f32 v88, v0, v10, -v4
	v_mul_f32_e32 v0, v3, v238
	v_fmac_f32_e32 v89, v1, v10
	v_fmac_f32_e32 v97, v3, v237
	v_fma_f32 v96, v2, v237, -v0
	ds_read2_b64 v[0:3], v162 offset0:128 offset1:224
	s_clause 0x1
	global_load_dwordx2 v[241:242], v[6:7], off offset:48
	global_load_dwordx2 v[116:117], v[6:7], off offset:432
	s_waitcnt vmcnt(2) lgkmcnt(0)
	v_mul_f32_e32 v4, v1, v240
	v_mul_f32_e32 v99, v0, v240
	v_fma_f32 v98, v0, v239, -v4
	v_fmac_f32_e32 v99, v1, v239
	s_waitcnt vmcnt(1)
	v_mul_f32_e32 v0, v3, v242
	v_mul_f32_e32 v105, v2, v242
	v_fma_f32 v104, v2, v241, -v0
	v_add_co_u32 v0, s8, 0xffffffd0, v166
	v_add_co_ci_u32_e64 v1, null, 0, -1, s8
	v_fmac_f32_e32 v105, v3, v241
	v_cndmask_b32_e32 v10, v0, v91, vcc_lo
	v_cndmask_b32_e32 v11, v1, v19, vcc_lo
	v_lshlrev_b64 v[0:1], 3, v[10:11]
	v_add_co_u32 v0, vcc_lo, s10, v0
	v_add_co_ci_u32_e32 v1, vcc_lo, s11, v1, vcc_lo
	v_add_co_u32 v0, vcc_lo, 0x1000, v0
	v_add_co_ci_u32_e32 v1, vcc_lo, 0, v1, vcc_lo
	s_clause 0x1
	global_load_dwordx2 v[243:244], v[0:1], off offset:1584
	global_load_dwordx2 v[8:9], v[8:9], off offset:1584
	ds_read2_b64 v[0:3], v223 offset0:64 offset1:160
	buffer_store_dword v108, off, s[20:23], 0 offset:416 ; 4-byte Folded Spill
	buffer_store_dword v109, off, s[20:23], 0 offset:420 ; 4-byte Folded Spill
	v_cmp_lt_u16_e32 vcc_lo, 47, v83
	s_waitcnt vmcnt(1) lgkmcnt(0)
	v_mul_f32_e32 v4, v1, v244
	v_mul_f32_e32 v107, v0, v244
	;; [unrolled: 1-line block ×3, first 2 shown]
	v_fma_f32 v19, v0, v243, -v4
	v_mul_f32_e32 v0, v3, v109
	v_fmac_f32_e32 v107, v1, v243
	v_fmac_f32_e32 v113, v3, v108
	v_fma_f32 v112, v2, v108, -v0
	ds_read2_b64 v[0:3], v196 offset1:96
	buffer_store_dword v14, off, s[20:23], 0 offset:408 ; 4-byte Folded Spill
	buffer_store_dword v15, off, s[20:23], 0 offset:412 ; 4-byte Folded Spill
	;; [unrolled: 1-line block ×4, first 2 shown]
	s_waitcnt lgkmcnt(0)
	v_mul_f32_e32 v4, v1, v15
	v_mul_f32_e32 v115, v0, v15
	;; [unrolled: 1-line block ×3, first 2 shown]
	v_fma_f32 v114, v0, v14, -v4
	v_mul_f32_e32 v0, v3, v103
	v_fmac_f32_e32 v115, v1, v14
	v_fmac_f32_e32 v121, v3, v102
	s_waitcnt vmcnt(0)
	v_mov_b32_e32 v15, v9
	v_mov_b32_e32 v14, v8
	v_fma_f32 v120, v2, v102, -v0
	ds_read2_b64 v[0:3], v81 offset0:64 offset1:160
	buffer_store_dword v94, off, s[20:23], 0 offset:392 ; 4-byte Folded Spill
	buffer_store_dword v95, off, s[20:23], 0 offset:396 ; 4-byte Folded Spill
	;; [unrolled: 1-line block ×4, first 2 shown]
	s_waitcnt lgkmcnt(0)
	v_mul_f32_e32 v4, v1, v95
	v_mul_f32_e32 v123, v0, v95
	;; [unrolled: 1-line block ×3, first 2 shown]
	v_fma_f32 v122, v0, v94, -v4
	v_mul_f32_e32 v0, v3, v111
	v_fmac_f32_e32 v123, v1, v94
	v_fmac_f32_e32 v129, v3, v110
	v_fma_f32 v128, v2, v110, -v0
	ds_read2_b64 v[0:3], v163 offset0:128 offset1:224
	buffer_store_dword v100, off, s[20:23], 0 offset:376 ; 4-byte Folded Spill
	buffer_store_dword v101, off, s[20:23], 0 offset:380 ; 4-byte Folded Spill
	;; [unrolled: 1-line block ×4, first 2 shown]
	s_waitcnt lgkmcnt(0)
	v_mul_f32_e32 v4, v1, v101
	v_mul_f32_e32 v131, v0, v101
	;; [unrolled: 1-line block ×3, first 2 shown]
	v_fma_f32 v130, v0, v100, -v4
	v_mul_f32_e32 v0, v3, v117
	v_fmac_f32_e32 v131, v1, v100
	v_fmac_f32_e32 v133, v3, v116
	v_fma_f32 v132, v2, v116, -v0
	ds_read2_b64 v[0:3], v146 offset0:64 offset1:160
	buffer_store_dword v14, off, s[20:23], 0 offset:360 ; 4-byte Folded Spill
	buffer_store_dword v15, off, s[20:23], 0 offset:364 ; 4-byte Folded Spill
	s_waitcnt lgkmcnt(0)
	v_sub_f32_e32 v132, v0, v132
	v_sub_f32_e32 v133, v1, v133
	v_fma_f32 v0, v0, 2.0, -v132
	v_fma_f32 v1, v1, 2.0, -v133
	v_mul_f32_e32 v4, v3, v15
	v_mul_f32_e32 v9, v2, v15
	v_fma_f32 v8, v2, v14, -v4
	v_fmac_f32_e32 v9, v3, v14
	ds_read2_b64 v[2:5], v140 offset1:96
	s_waitcnt lgkmcnt(0)
	v_sub_f32_e32 v8, v2, v8
	v_sub_f32_e32 v9, v3, v9
	v_sub_f32_e32 v11, v4, v12
	v_sub_f32_e32 v12, v5, v13
	v_fma_f32 v13, v2, 2.0, -v8
	v_fma_f32 v14, v3, 2.0, -v9
	v_fma_f32 v15, v4, 2.0, -v11
	v_fma_f32 v16, v5, 2.0, -v12
	ds_read2_b64 v[2:5], v82 offset0:64 offset1:160
	s_waitcnt lgkmcnt(0)
	v_sub_f32_e32 v17, v2, v17
	v_sub_f32_e32 v18, v3, v18
	v_sub_f32_e32 v88, v4, v88
	v_sub_f32_e32 v89, v5, v89
	v_fma_f32 v90, v2, 2.0, -v17
	v_fma_f32 v91, v3, 2.0, -v18
	v_fma_f32 v94, v4, 2.0, -v88
	v_fma_f32 v95, v5, 2.0, -v89
	ds_read2_b64 v[2:5], v80 offset0:128 offset1:224
	;; [unrolled: 10-line block ×3, first 2 shown]
	s_waitcnt lgkmcnt(0)
	v_sub_f32_e32 v104, v2, v104
	v_sub_f32_e32 v105, v3, v105
	;; [unrolled: 1-line block ×4, first 2 shown]
	v_fma_f32 v108, v2, 2.0, -v104
	v_fma_f32 v109, v3, 2.0, -v105
	v_fma_f32 v110, v4, 2.0, -v106
	v_fma_f32 v111, v5, 2.0, -v107
	ds_read2_b64 v[2:5], v255 offset1:96
	s_waitcnt lgkmcnt(0)
	v_sub_f32_e32 v112, v2, v112
	v_sub_f32_e32 v113, v3, v113
	;; [unrolled: 1-line block ×4, first 2 shown]
	v_fma_f32 v116, v2, 2.0, -v112
	v_fma_f32 v117, v3, 2.0, -v113
	;; [unrolled: 1-line block ×4, first 2 shown]
	ds_read2_b64 v[2:5], v184 offset0:64 offset1:160
	s_waitcnt lgkmcnt(0)
	v_sub_f32_e32 v120, v2, v120
	v_sub_f32_e32 v121, v3, v121
	;; [unrolled: 1-line block ×4, first 2 shown]
	v_fma_f32 v124, v2, 2.0, -v120
	v_fma_f32 v125, v3, 2.0, -v121
	;; [unrolled: 1-line block ×4, first 2 shown]
	ds_read2_b64 v[2:5], v84 offset0:128 offset1:224
	s_waitcnt lgkmcnt(0)
	s_waitcnt_vscnt null, 0x0
	s_barrier
	buffer_gl0_inv
	ds_write_b64 v140, v[8:9] offset:5760
	ds_write2_b64 v140, v[13:14], v[15:16] offset1:96
	ds_write2_b64 v255, v[11:12], v[17:18] offset0:48 offset1:144
	ds_write2_b64 v82, v[90:91], v[94:95] offset0:64 offset1:160
	;; [unrolled: 1-line block ×4, first 2 shown]
	ds_write_b64 v140, v[108:109] offset:4608
	ds_write2_b64 v190, v[98:99], v[104:105] offset0:48 offset1:144
	v_cndmask_b32_e64 v8, 0, 0x5a0, vcc_lo
	v_add_lshl_u32 v8, v10, v8, 3
	buffer_store_dword v8, off, s[20:23], 0 offset:356 ; 4-byte Folded Spill
	ds_write_b64 v8, v[110:111]
	ds_write_b64 v8, v[106:107] offset:5760
	v_add_nc_u32_e32 v8, 0x2c00, v140
	ds_write2_b64 v196, v[114:115], v[120:121] offset1:96
	v_sub_f32_e32 v128, v2, v128
	v_sub_f32_e32 v129, v3, v129
	v_sub_f32_e32 v130, v4, v130
	v_sub_f32_e32 v131, v5, v131
	ds_write2_b64 v8, v[116:117], v[118:119] offset0:80 offset1:176
	v_fma_f32 v2, v2, 2.0, -v128
	v_fma_f32 v3, v3, 2.0, -v129
	v_fma_f32 v4, v4, 2.0, -v130
	v_fma_f32 v5, v5, 2.0, -v131
	ds_write2_b64 v87, v[124:125], v[126:127] offset0:144 offset1:240
	ds_write2_b64 v81, v[122:123], v[128:129] offset0:64 offset1:160
	;; [unrolled: 1-line block ×5, first 2 shown]
	v_add_co_u32 v0, vcc_lo, 0x3000, v92
	v_add_co_ci_u32_e32 v1, vcc_lo, 0, v93, vcc_lo
	s_waitcnt lgkmcnt(0)
	s_waitcnt_vscnt null, 0x0
	s_barrier
	buffer_gl0_inv
	s_clause 0x3
	global_load_dwordx2 v[12:13], v[0:1], off offset:688
	global_load_dwordx2 v[10:11], v[0:1], off offset:1456
	global_load_dwordx2 v[4:5], v[6:7], off offset:1968
	global_load_dwordx2 v[18:19], v[6:7], off offset:1200
	ds_read2_b64 v[0:3], v87 offset1:96
	v_mov_b32_e32 v21, v8
	v_mov_b32_e32 v129, v210
	;; [unrolled: 1-line block ×4, first 2 shown]
	s_waitcnt vmcnt(1)
	v_mov_b32_e32 v6, v5
	v_mov_b32_e32 v5, v4
	buffer_store_dword v5, off, s[20:23], 0 offset:492 ; 4-byte Folded Spill
	buffer_store_dword v6, off, s[20:23], 0 offset:496 ; 4-byte Folded Spill
	;; [unrolled: 1-line block ×4, first 2 shown]
	s_waitcnt lgkmcnt(0)
	v_mul_f32_e32 v4, v1, v6
	v_mul_f32_e32 v9, v0, v6
	;; [unrolled: 1-line block ×3, first 2 shown]
	v_fma_f32 v8, v0, v5, -v4
	v_mul_f32_e32 v0, v3, v13
	v_fmac_f32_e32 v9, v1, v5
	v_fmac_f32_e32 v15, v3, v12
	v_fma_f32 v14, v2, v12, -v0
	v_add_co_u32 v0, vcc_lo, 0x3800, v92
	v_add_co_ci_u32_e32 v1, vcc_lo, 0, v93, vcc_lo
	s_clause 0x2
	global_load_dwordx2 v[184:185], v[0:1], off offset:176
	global_load_dwordx2 v[190:191], v[0:1], off offset:944
	;; [unrolled: 1-line block ×3, first 2 shown]
	ds_read2_b64 v[0:3], v210 offset0:64 offset1:160
	buffer_store_dword v10, off, s[20:23], 0 offset:476 ; 4-byte Folded Spill
	buffer_store_dword v11, off, s[20:23], 0 offset:480 ; 4-byte Folded Spill
	s_waitcnt vmcnt(2) lgkmcnt(0)
	v_mul_f32_e32 v91, v2, v185
	v_mul_f32_e32 v4, v1, v11
	;; [unrolled: 1-line block ×3, first 2 shown]
	v_fmac_f32_e32 v91, v3, v184
	v_fma_f32 v16, v0, v10, -v4
	v_add_co_u32 v4, vcc_lo, 0x4000, v92
	v_add_co_ci_u32_e32 v5, vcc_lo, 0, v93, vcc_lo
	v_mul_f32_e32 v0, v3, v185
	v_fmac_f32_e32 v17, v1, v10
	global_load_dwordx2 v[227:228], v[4:5], off offset:432
	v_fma_f32 v83, v2, v184, -v0
	ds_read2_b64 v[0:3], v162 offset0:128 offset1:224
	s_clause 0x1
	global_load_dwordx2 v[166:167], v[4:5], off offset:1200
	global_load_dwordx2 v[233:234], v[4:5], off offset:1968
	s_waitcnt vmcnt(4) lgkmcnt(0)
	v_mul_f32_e32 v6, v1, v191
	v_mul_f32_e32 v95, v0, v191
	s_waitcnt vmcnt(3)
	v_mul_f32_e32 v99, v2, v212
	v_fma_f32 v94, v0, v190, -v6
	v_mul_f32_e32 v0, v3, v212
	v_fmac_f32_e32 v95, v1, v190
	v_fmac_f32_e32 v99, v3, v211
	v_fma_f32 v98, v2, v211, -v0
	ds_read2_b64 v[0:3], v223 offset0:64 offset1:160
	s_waitcnt vmcnt(2) lgkmcnt(0)
	v_mul_f32_e32 v4, v1, v228
	v_mul_f32_e32 v101, v0, v228
	s_waitcnt vmcnt(1)
	v_mul_f32_e32 v107, v2, v167
	v_fma_f32 v100, v0, v227, -v4
	v_add_co_u32 v4, vcc_lo, 0x4800, v92
	v_add_co_ci_u32_e32 v5, vcc_lo, 0, v93, vcc_lo
	s_clause 0x1
	global_load_dwordx2 v[229:230], v[4:5], off offset:688
	global_load_dwordx2 v[251:252], v[4:5], off offset:1456
	v_mul_f32_e32 v0, v3, v167
	v_fmac_f32_e32 v101, v1, v227
	v_fmac_f32_e32 v107, v3, v166
	v_fma_f32 v106, v2, v166, -v0
	ds_read2_b64 v[0:3], v196 offset1:96
	v_mov_b32_e32 v196, v80
	s_waitcnt vmcnt(2) lgkmcnt(0)
	v_mul_f32_e32 v4, v1, v234
	v_mul_f32_e32 v109, v0, v234
	v_fma_f32 v108, v0, v233, -v4
	v_fmac_f32_e32 v109, v1, v233
	s_waitcnt vmcnt(1)
	v_mul_f32_e32 v0, v3, v230
	v_mul_f32_e32 v115, v2, v230
	v_fma_f32 v114, v2, v229, -v0
	v_add_co_u32 v0, vcc_lo, 0x5000, v92
	v_add_co_ci_u32_e32 v1, vcc_lo, 0, v93, vcc_lo
	s_clause 0x2
	global_load_dwordx2 v[253:254], v[0:1], off offset:176
	global_load_dwordx2 v[249:250], v[0:1], off offset:944
	;; [unrolled: 1-line block ×3, first 2 shown]
	v_fmac_f32_e32 v115, v3, v229
	ds_read2_b64 v[0:3], v81 offset0:64 offset1:160
	s_waitcnt vmcnt(3) lgkmcnt(0)
	v_mul_f32_e32 v4, v1, v252
	v_mul_f32_e32 v117, v0, v252
	v_fma_f32 v116, v0, v251, -v4
	v_fmac_f32_e32 v117, v1, v251
	s_waitcnt vmcnt(2)
	v_mul_f32_e32 v0, v3, v254
	v_mul_f32_e32 v123, v2, v254
	v_fma_f32 v122, v2, v253, -v0
	v_fmac_f32_e32 v123, v3, v253
	ds_read2_b64 v[0:3], v163 offset0:128 offset1:224
	s_waitcnt vmcnt(1) lgkmcnt(0)
	v_mul_f32_e32 v4, v1, v250
	v_mul_f32_e32 v125, v0, v250
	s_waitcnt vmcnt(0)
	v_mul_f32_e32 v127, v2, v248
	v_fma_f32 v124, v0, v249, -v4
	v_mul_f32_e32 v0, v3, v248
	v_fmac_f32_e32 v125, v1, v249
	v_fmac_f32_e32 v127, v3, v247
	v_fma_f32 v126, v2, v247, -v0
	ds_read2_b64 v[0:3], v146 offset0:64 offset1:160
	buffer_store_dword v18, off, s[20:23], 0 offset:452 ; 4-byte Folded Spill
	buffer_store_dword v19, off, s[20:23], 0 offset:456 ; 4-byte Folded Spill
	s_waitcnt lgkmcnt(0)
	v_sub_f32_e32 v126, v0, v126
	v_sub_f32_e32 v127, v1, v127
	v_fma_f32 v0, v0, 2.0, -v126
	v_fma_f32 v1, v1, 2.0, -v127
	v_mul_f32_e32 v4, v3, v19
	v_mul_f32_e32 v7, v2, v19
	v_fma_f32 v6, v2, v18, -v4
	v_fmac_f32_e32 v7, v3, v18
	ds_read2_b64 v[2:5], v140 offset1:96
	s_waitcnt lgkmcnt(0)
	v_sub_f32_e32 v6, v2, v6
	v_sub_f32_e32 v7, v3, v7
	v_sub_f32_e32 v8, v4, v8
	v_sub_f32_e32 v9, v5, v9
	v_fma_f32 v10, v2, 2.0, -v6
	v_fma_f32 v11, v3, 2.0, -v7
	v_fma_f32 v12, v4, 2.0, -v8
	v_fma_f32 v13, v5, 2.0, -v9
	ds_read2_b64 v[2:5], v82 offset0:64 offset1:160
	s_waitcnt lgkmcnt(0)
	v_sub_f32_e32 v14, v2, v14
	v_sub_f32_e32 v15, v3, v15
	v_sub_f32_e32 v16, v4, v16
	v_sub_f32_e32 v17, v5, v17
	v_fma_f32 v18, v2, 2.0, -v14
	v_fma_f32 v19, v3, 2.0, -v15
	v_fma_f32 v88, v4, 2.0, -v16
	v_fma_f32 v89, v5, 2.0, -v17
	ds_read2_b64 v[2:5], v80 offset0:128 offset1:224
	;; [unrolled: 10-line block ×3, first 2 shown]
	s_waitcnt lgkmcnt(0)
	v_sub_f32_e32 v98, v2, v98
	v_sub_f32_e32 v99, v3, v99
	;; [unrolled: 1-line block ×4, first 2 shown]
	v_fma_f32 v102, v2, 2.0, -v98
	v_fma_f32 v103, v3, 2.0, -v99
	;; [unrolled: 1-line block ×4, first 2 shown]
	ds_read2_b64 v[2:5], v255 offset1:96
	s_waitcnt lgkmcnt(0)
	v_sub_f32_e32 v106, v2, v106
	v_sub_f32_e32 v107, v3, v107
	;; [unrolled: 1-line block ×4, first 2 shown]
	v_fma_f32 v110, v2, 2.0, -v106
	v_fma_f32 v111, v3, 2.0, -v107
	;; [unrolled: 1-line block ×4, first 2 shown]
	ds_read2_b64 v[2:5], v155 offset0:64 offset1:160
	s_waitcnt lgkmcnt(0)
	v_sub_f32_e32 v114, v2, v114
	v_sub_f32_e32 v115, v3, v115
	;; [unrolled: 1-line block ×4, first 2 shown]
	v_fma_f32 v118, v2, 2.0, -v114
	v_fma_f32 v119, v3, 2.0, -v115
	;; [unrolled: 1-line block ×4, first 2 shown]
	ds_read2_b64 v[2:5], v84 offset0:128 offset1:224
	s_waitcnt lgkmcnt(0)
	v_sub_f32_e32 v122, v2, v122
	v_sub_f32_e32 v123, v3, v123
	;; [unrolled: 1-line block ×4, first 2 shown]
	ds_write_b64 v140, v[6:7] offset:11520
	ds_write2_b64 v140, v[10:11], v[12:13] offset1:96
	ds_write2_b64 v87, v[8:9], v[14:15] offset1:96
	ds_write2_b64 v82, v[18:19], v[88:89] offset0:64 offset1:160
	ds_write2_b64 v210, v[16:17], v[90:91] offset0:64 offset1:160
	;; [unrolled: 1-line block ×6, first 2 shown]
	ds_write2_b64 v255, v[110:111], v[112:113] offset1:96
	ds_write2_b64 v134, v[108:109], v[114:115] offset1:96
	ds_write2_b64 v155, v[118:119], v[120:121] offset0:64 offset1:160
	ds_write2_b64 v81, v[116:117], v[122:123] offset0:64 offset1:160
	v_fma_f32 v2, v2, 2.0, -v122
	v_fma_f32 v3, v3, 2.0, -v123
	;; [unrolled: 1-line block ×4, first 2 shown]
	v_add_co_u32 v122, s8, s6, v140
	v_add_co_ci_u32_e64 v123, null, s7, 0, s8
	ds_write2_b64 v84, v[2:3], v[4:5] offset0:128 offset1:224
	ds_write2_b64 v163, v[124:125], v[126:127] offset0:128 offset1:224
	ds_write_b64 v140, v[0:1] offset:10752
	s_waitcnt lgkmcnt(0)
	s_waitcnt_vscnt null, 0x0
	s_barrier
	buffer_gl0_inv
	s_clause 0x2
	global_load_dwordx2 v[4:5], v140, s[6:7]
	global_load_dwordx2 v[6:7], v140, s[6:7] offset:768
	global_load_dwordx2 v[8:9], v140, s[6:7] offset:1536
	ds_read2_b64 v[0:3], v140 offset1:96
	v_mov_b32_e32 v210, v81
	v_mov_b32_e32 v223, v87
	s_mul_i32 s8, s1, 0xffffb200
	s_sub_i32 s8, s8, s0
	s_waitcnt vmcnt(2) lgkmcnt(0)
	v_mul_f32_e32 v10, v1, v5
	v_mul_f32_e32 v11, v0, v5
	s_waitcnt vmcnt(1)
	v_mul_f32_e32 v5, v2, v7
	v_fma_f32 v10, v0, v4, -v10
	v_mul_f32_e32 v0, v3, v7
	v_fmac_f32_e32 v11, v1, v4
	v_fmac_f32_e32 v5, v3, v6
	v_fma_f32 v4, v2, v6, -v0
	v_add_co_u32 v0, vcc_lo, 0x1000, v122
	v_add_co_ci_u32_e32 v1, vcc_lo, 0, v123, vcc_lo
	ds_write_b64 v140, v[10:11]
	s_clause 0x1
	global_load_dwordx2 v[6:7], v[0:1], off offset:512
	global_load_dwordx2 v[10:11], v[0:1], off offset:1280
	v_add_co_u32 v0, vcc_lo, 0x1800, v122
	v_add_co_ci_u32_e32 v1, vcc_lo, 0, v123, vcc_lo
	s_clause 0x1
	global_load_dwordx2 v[12:13], v[0:1], off offset:768
	global_load_dwordx2 v[14:15], v[0:1], off offset:1536
	ds_read2_b64 v[0:3], v85 offset0:64 offset1:160
	s_waitcnt vmcnt(3) lgkmcnt(0)
	v_mul_f32_e32 v16, v1, v7
	v_mul_f32_e32 v17, v0, v7
	s_waitcnt vmcnt(2)
	v_mul_f32_e32 v7, v2, v11
	v_fma_f32 v16, v0, v6, -v16
	v_mul_f32_e32 v0, v3, v11
	v_fmac_f32_e32 v17, v1, v6
	v_fmac_f32_e32 v7, v3, v10
	v_fma_f32 v6, v2, v10, -v0
	buffer_load_dword v0, off, s[20:23], 0 offset:276 ; 4-byte Folded Reload
	s_waitcnt vmcnt(0)
	global_load_dwordx2 v[10:11], v0, s[6:7]
	ds_read2_b64 v[0:3], v84 offset0:128 offset1:224
	s_waitcnt vmcnt(0) lgkmcnt(0)
	v_mul_f32_e32 v18, v1, v11
	v_mul_f32_e32 v19, v0, v11
	v_fma_f32 v18, v0, v10, -v18
	v_add_co_u32 v0, vcc_lo, 0x4000, v122
	v_fmac_f32_e32 v19, v1, v10
	v_add_co_ci_u32_e32 v1, vcc_lo, 0, v123, vcc_lo
	v_add_co_u32 v10, vcc_lo, 0x2000, v122
	v_add_co_ci_u32_e32 v11, vcc_lo, 0, v123, vcc_lo
	s_clause 0x3
	global_load_dwordx2 v[82:83], v[0:1], off offset:512
	global_load_dwordx2 v[88:89], v[0:1], off offset:1280
	;; [unrolled: 1-line block ×4, first 2 shown]
	s_waitcnt vmcnt(1)
	v_mul_f32_e32 v90, v3, v1
	v_mul_f32_e32 v91, v2, v1
	v_fma_f32 v90, v2, v0, -v90
	v_fmac_f32_e32 v91, v3, v0
	v_add_co_u32 v0, vcc_lo, 0x3000, v122
	v_add_co_ci_u32_e32 v1, vcc_lo, 0, v123, vcc_lo
	s_clause 0x1
	global_load_dwordx2 v[92:93], v[0:1], off offset:1536
	global_load_dwordx2 v[94:95], v[0:1], off offset:768
	ds_read2_b64 v[0:3], v129 offset0:64 offset1:160
	s_waitcnt vmcnt(1) lgkmcnt(0)
	v_mul_f32_e32 v96, v1, v93
	v_mul_f32_e32 v97, v0, v93
	v_fma_f32 v96, v0, v92, -v96
	v_add_co_u32 v0, vcc_lo, 0x3800, v122
	v_fmac_f32_e32 v97, v1, v92
	v_add_co_ci_u32_e32 v1, vcc_lo, 0, v123, vcc_lo
	v_add_co_u32 v92, vcc_lo, 0x5000, v122
	v_add_co_ci_u32_e32 v93, vcc_lo, 0, v123, vcc_lo
	s_clause 0x3
	global_load_dwordx2 v[98:99], v[0:1], off offset:256
	global_load_dwordx2 v[100:101], v[0:1], off offset:1792
	;; [unrolled: 1-line block ×4, first 2 shown]
	s_waitcnt vmcnt(3)
	v_mul_f32_e32 v0, v3, v99
	v_mul_f32_e32 v105, v2, v99
	v_fma_f32 v104, v2, v98, -v0
	buffer_load_dword v0, off, s[20:23], 0 offset:272 ; 4-byte Folded Reload
	v_fmac_f32_e32 v105, v3, v98
	s_waitcnt vmcnt(0)
	global_load_dwordx2 v[98:99], v0, s[6:7]
	buffer_load_dword v0, off, s[20:23], 0 offset:284 ; 4-byte Folded Reload
	s_waitcnt vmcnt(0)
	s_clause 0x1
	global_load_dwordx2 v[106:107], v0, s[6:7]
	global_load_dwordx2 v[85:86], v86, s[6:7]
	buffer_load_dword v0, off, s[20:23], 0 offset:288 ; 4-byte Folded Reload
	s_waitcnt vmcnt(0)
	global_load_dwordx2 v[108:109], v0, s[6:7]
	ds_read2_b64 v[0:3], v134 offset1:96
	s_waitcnt lgkmcnt(0)
	v_mul_f32_e32 v80, v1, v99
	v_mul_f32_e32 v111, v0, v99
	v_fma_f32 v110, v0, v98, -v80
	v_add_co_u32 v0, vcc_lo, 0x4800, v122
	v_fmac_f32_e32 v111, v1, v98
	v_add_co_ci_u32_e32 v1, vcc_lo, 0, v123, vcc_lo
	s_clause 0x1
	global_load_dwordx2 v[98:99], v[0:1], off offset:768
	global_load_dwordx2 v[112:113], v[0:1], off offset:1536
	s_waitcnt vmcnt(1)
	v_mul_f32_e32 v0, v3, v99
	v_mul_f32_e32 v115, v2, v99
	v_fma_f32 v114, v2, v98, -v0
	v_add_co_u32 v0, vcc_lo, 0x800, v122
	v_add_co_ci_u32_e32 v1, vcc_lo, 0, v123, vcc_lo
	v_fmac_f32_e32 v115, v3, v98
	s_clause 0x1
	global_load_dwordx2 v[98:99], v[0:1], off offset:256
	global_load_dwordx2 v[116:117], v[0:1], off offset:1792
	buffer_load_dword v0, off, s[20:23], 0 offset:280 ; 4-byte Folded Reload
	s_waitcnt vmcnt(0)
	global_load_dwordx2 v[118:119], v0, s[6:7]
	ds_read2_b64 v[0:3], v205 offset0:64 offset1:160
	s_waitcnt lgkmcnt(0)
	v_mul_f32_e32 v80, v3, v99
	v_mul_f32_e32 v121, v2, v99
	v_mul_f32_e32 v99, v0, v9
	v_fma_f32 v120, v2, v98, -v80
	v_mul_f32_e32 v2, v1, v9
	v_fmac_f32_e32 v121, v3, v98
	v_fmac_f32_e32 v99, v1, v8
	v_fma_f32 v98, v0, v8, -v2
	ds_read2_b64 v[0:3], v196 offset0:128 offset1:224
	s_waitcnt lgkmcnt(0)
	v_mul_f32_e32 v8, v1, v107
	v_mul_f32_e32 v9, v0, v107
	;; [unrolled: 1-line block ×3, first 2 shown]
	v_fma_f32 v8, v0, v106, -v8
	v_mul_f32_e32 v0, v3, v117
	v_fmac_f32_e32 v9, v1, v106
	v_fmac_f32_e32 v107, v3, v116
	v_fma_f32 v106, v2, v116, -v0
	ds_read2_b64 v[0:3], v255 offset1:96
	s_waitcnt lgkmcnt(0)
	v_mul_f32_e32 v80, v3, v13
	v_mul_f32_e32 v117, v2, v13
	v_fma_f32 v116, v2, v12, -v80
	buffer_load_dword v2, off, s[20:23], 0 offset:264 ; 4-byte Folded Reload
	v_fmac_f32_e32 v117, v3, v12
	s_waitcnt vmcnt(0)
	global_load_dwordx2 v[2:3], v2, s[6:7]
	s_mov_b32 s6, 0x16c16c17
	s_mov_b32 s7, 0x3f36c16c
	s_waitcnt vmcnt(0)
	v_mul_f32_e32 v12, v1, v3
	v_mul_f32_e32 v13, v0, v3
	v_fma_f32 v12, v0, v2, -v12
	v_fmac_f32_e32 v13, v1, v2
	ds_read2_b64 v[0:3], v155 offset0:64 offset1:160
	s_waitcnt lgkmcnt(0)
	v_mul_f32_e32 v80, v1, v15
	v_mul_f32_e32 v81, v0, v15
	;; [unrolled: 1-line block ×3, first 2 shown]
	v_fma_f32 v80, v0, v14, -v80
	v_mul_f32_e32 v0, v3, v11
	v_fmac_f32_e32 v81, v1, v14
	v_fmac_f32_e32 v15, v3, v10
	v_fma_f32 v14, v2, v10, -v0
	v_add_co_u32 v0, vcc_lo, 0x2800, v122
	v_add_co_ci_u32_e32 v1, vcc_lo, 0, v123, vcc_lo
	s_clause 0x1
	global_load_dwordx2 v[10:11], v[0:1], off offset:1280
	global_load_dwordx2 v[122:123], v[0:1], off offset:512
	ds_read2_b64 v[0:3], v146 offset0:64 offset1:160
	s_waitcnt vmcnt(1) lgkmcnt(0)
	v_mul_f32_e32 v84, v3, v11
	v_mul_f32_e32 v125, v2, v11
	s_waitcnt vmcnt(0)
	v_mul_f32_e32 v11, v0, v123
	v_fma_f32 v124, v2, v10, -v84
	v_mul_f32_e32 v2, v1, v123
	v_fmac_f32_e32 v125, v3, v10
	v_fmac_f32_e32 v11, v1, v122
	v_fma_f32 v10, v0, v122, -v2
	ds_read2_b64 v[0:3], v87 offset1:96
	s_waitcnt lgkmcnt(0)
	v_mul_f32_e32 v84, v1, v86
	v_mul_f32_e32 v123, v0, v86
	v_fma_f32 v122, v0, v85, -v84
	v_fmac_f32_e32 v123, v1, v85
	v_mul_f32_e32 v0, v3, v95
	v_mul_f32_e32 v85, v2, v95
	v_fma_f32 v84, v2, v94, -v0
	v_fmac_f32_e32 v85, v3, v94
	ds_read2_b64 v[0:3], v162 offset0:128 offset1:224
	s_waitcnt lgkmcnt(0)
	v_mul_f32_e32 v86, v3, v101
	v_mul_f32_e32 v87, v2, v101
	v_mul_f32_e32 v95, v0, v119
	v_fma_f32 v86, v2, v100, -v86
	v_mul_f32_e32 v2, v1, v119
	v_fmac_f32_e32 v87, v3, v100
	v_fmac_f32_e32 v95, v1, v118
	v_fma_f32 v94, v0, v118, -v2
	ds_read2_b64 v[0:3], v20 offset0:64 offset1:160
	s_waitcnt lgkmcnt(0)
	v_mul_f32_e32 v100, v1, v83
	v_mul_f32_e32 v101, v0, v83
	v_mul_f32_e32 v83, v2, v89
	v_fma_f32 v100, v0, v82, -v100
	v_mul_f32_e32 v0, v3, v89
	v_fmac_f32_e32 v101, v1, v82
	v_fmac_f32_e32 v83, v3, v88
	v_fma_f32 v82, v2, v88, -v0
	;; [unrolled: 10-line block ×3, first 2 shown]
	ds_read2_b64 v[0:3], v163 offset0:128 offset1:224
	s_waitcnt lgkmcnt(0)
	v_mul_f32_e32 v112, v1, v109
	v_mul_f32_e32 v113, v0, v109
	v_fma_f32 v112, v0, v108, -v112
	v_mul_f32_e32 v0, v3, v93
	v_fmac_f32_e32 v113, v1, v108
	v_mul_f32_e32 v1, v2, v93
	v_fma_f32 v0, v2, v92, -v0
	v_add_nc_u32_e32 v2, 0x3c00, v140
	v_fmac_f32_e32 v1, v3, v92
	ds_write2_b64 v2, v[86:87], v[100:101] offset0:96 offset1:192
	v_add_nc_u32_e32 v2, 0x4400, v140
	ds_write2_b64 v2, v[82:83], v[110:111] offset0:32 offset1:128
	ds_write2_b64 v196, v[120:121], v[8:9] offset0:32 offset1:128
	;; [unrolled: 1-line block ×13, first 2 shown]
	ds_write_b64 v140, v[0:1] offset:22272
	s_waitcnt lgkmcnt(0)
	s_barrier
	buffer_gl0_inv
	ds_read2_b64 v[100:103], v130 offset0:64 offset1:160
	ds_read2_b64 v[104:107], v128 offset0:128 offset1:224
	;; [unrolled: 1-line block ×3, first 2 shown]
	ds_read2_b64 v[112:115], v134 offset1:96
	ds_read2_b64 v[84:87], v255 offset1:96
	ds_read2_b64 v[88:91], v146 offset0:64 offset1:160
	ds_read2_b64 v[96:99], v162 offset0:128 offset1:224
	;; [unrolled: 1-line block ×4, first 2 shown]
	ds_read2_b64 v[136:139], v140 offset1:96
	v_mov_b32_e32 v23, v129
	v_mov_b32_e32 v22, v134
	ds_read2_b64 v[108:111], v196 offset0:128 offset1:224
	ds_read2_b64 v[128:131], v155 offset0:64 offset1:160
	ds_read2_b64 v[132:135], v223 offset1:96
	ds_read2_b64 v[124:127], v20 offset0:64 offset1:160
	ds_read2_b64 v[120:123], v226 offset0:128 offset1:224
	s_waitcnt lgkmcnt(0)
	s_barrier
	buffer_gl0_inv
	v_mov_b32_e32 v21, v146
	v_sub_f32_e32 v0, v100, v104
	v_sub_f32_e32 v147, v105, v117
	;; [unrolled: 1-line block ×7, first 2 shown]
	v_add_f32_e32 v154, v0, v1
	v_sub_f32_e32 v0, v101, v105
	v_sub_f32_e32 v1, v113, v117
	;; [unrolled: 1-line block ×5, first 2 shown]
	v_add_f32_e32 v153, v0, v1
	v_sub_f32_e32 v0, v86, v90
	v_sub_f32_e32 v1, v94, v98
	v_add_f32_e32 v148, v0, v1
	v_sub_f32_e32 v0, v87, v91
	v_sub_f32_e32 v1, v95, v99
	v_add_f32_e32 v145, v0, v1
	v_add_f32_e32 v0, v90, v98
	v_fma_f32 v2, -0.5, v0, v82
	v_add_f32_e32 v0, v91, v99
	v_fmamk_f32 v3, v9, 0xbf737871, v2
	v_fma_f32 v1, -0.5, v0, v83
	v_fmac_f32_e32 v2, 0x3f737871, v9
	v_fmac_f32_e32 v3, 0xbf167918, v16
	v_fmamk_f32 v0, v12, 0x3f737871, v1
	v_fmac_f32_e32 v1, 0xbf737871, v12
	v_fmac_f32_e32 v2, 0x3f167918, v16
	;; [unrolled: 1-line block ×6, first 2 shown]
	v_mul_f32_e32 v14, 0x3f167918, v3
	v_fmac_f32_e32 v0, 0x3e9e377a, v145
	v_fmac_f32_e32 v1, 0x3e9e377a, v145
	v_mul_f32_e32 v13, 0xbf167918, v0
	v_fmac_f32_e32 v14, 0x3f4f1bbd, v0
	v_add_f32_e32 v0, v136, v100
	v_fmac_f32_e32 v13, 0x3f4f1bbd, v3
	v_add_f32_e32 v0, v0, v104
	v_add_f32_e32 v0, v0, v116
	v_add_f32_e32 v19, v0, v112
	v_add_f32_e32 v0, v104, v116
	v_fma_f32 v163, -0.5, v0, v136
	v_add_f32_e32 v0, v137, v101
	v_fmamk_f32 v11, v15, 0xbf737871, v163
	v_add_f32_e32 v0, v0, v105
	v_fmac_f32_e32 v163, 0x3f737871, v15
	v_fmac_f32_e32 v11, 0xbf167918, v147
	v_add_f32_e32 v4, v0, v117
	v_add_f32_e32 v0, v82, v86
	v_fmac_f32_e32 v163, 0x3f167918, v147
	v_fmac_f32_e32 v11, 0x3e9e377a, v154
	v_add_f32_e32 v156, v4, v113
	v_add_f32_e32 v3, v0, v90
	v_add_f32_e32 v0, v83, v87
	v_fmac_f32_e32 v163, 0x3e9e377a, v154
	v_add_f32_e32 v6, v3, v98
	v_add_f32_e32 v5, v0, v91
	;; [unrolled: 1-line block ×5, first 2 shown]
	v_fma_f32 v10, -0.5, v0, v137
	buffer_load_dword v0, off, s[20:23], 0 offset:304 ; 4-byte Folded Reload
	v_add_f32_e32 v6, v11, v13
	v_add_f32_e32 v4, v19, v18
	;; [unrolled: 1-line block ×3, first 2 shown]
	v_fmamk_f32 v3, v8, 0x3f737871, v10
	v_fmac_f32_e32 v10, 0xbf737871, v8
	v_add_f32_e32 v5, v156, v159
	v_fmac_f32_e32 v3, 0x3f167918, v146
	v_fmac_f32_e32 v10, 0xbf167918, v146
	;; [unrolled: 1-line block ×4, first 2 shown]
	v_add_f32_e32 v7, v3, v14
	v_sub_f32_e32 v3, v3, v14
	v_sub_f32_e32 v14, v114, v118
	s_waitcnt vmcnt(0)
	ds_write_b128 v0, v[4:7]
	v_sub_f32_e32 v4, v104, v100
	v_sub_f32_e32 v5, v116, v112
	;; [unrolled: 1-line block ×3, first 2 shown]
	v_add_f32_e32 v4, v4, v5
	v_add_f32_e32 v5, v100, v112
	v_mov_b32_e32 v112, v22
	v_fma_f32 v100, -0.5, v5, v136
	v_sub_f32_e32 v5, v117, v113
	v_fmamk_f32 v104, v147, 0x3f737871, v100
	v_fmac_f32_e32 v100, 0xbf737871, v147
	v_fmac_f32_e32 v104, 0xbf167918, v15
	;; [unrolled: 1-line block ×3, first 2 shown]
	v_sub_f32_e32 v15, v118, v114
	v_fmac_f32_e32 v104, 0x3e9e377a, v4
	v_fmac_f32_e32 v100, 0x3e9e377a, v4
	v_sub_f32_e32 v4, v105, v101
	v_add_f32_e32 v4, v4, v5
	v_add_f32_e32 v5, v101, v113
	v_mov_b32_e32 v113, v23
	v_fma_f32 v101, -0.5, v5, v137
	v_sub_f32_e32 v5, v98, v94
	v_fmamk_f32 v105, v146, 0xbf737871, v101
	v_fmac_f32_e32 v101, 0x3f737871, v146
	v_fmac_f32_e32 v105, 0x3f167918, v8
	;; [unrolled: 1-line block ×3, first 2 shown]
	v_mul_f32_e32 v8, 0xbf167918, v1
	v_fmac_f32_e32 v105, 0x3e9e377a, v4
	v_fmac_f32_e32 v101, 0x3e9e377a, v4
	v_sub_f32_e32 v4, v90, v86
	v_fmac_f32_e32 v8, 0xbf4f1bbd, v2
	v_sub_f32_e32 v90, v132, v124
	v_add_f32_e32 v4, v4, v5
	v_add_f32_e32 v5, v86, v94
	v_sub_f32_e32 v94, v133, v125
	v_fma_f32 v5, -0.5, v5, v82
	v_fmamk_f32 v6, v16, 0x3f737871, v5
	v_fmac_f32_e32 v5, 0xbf737871, v16
	v_sub_f32_e32 v16, v115, v119
	v_fmac_f32_e32 v6, 0xbf167918, v9
	v_fmac_f32_e32 v5, 0x3f167918, v9
	v_mul_f32_e32 v9, 0xbf4f1bbd, v1
	v_fmac_f32_e32 v6, 0x3e9e377a, v4
	v_fmac_f32_e32 v5, 0x3e9e377a, v4
	v_sub_f32_e32 v4, v91, v87
	v_fmac_f32_e32 v9, 0x3f167918, v2
	v_sub_f32_e32 v2, v11, v13
	v_sub_f32_e32 v91, v129, v121
	v_add_f32_e32 v11, v102, v114
	v_add_f32_e32 v4, v4, v7
	;; [unrolled: 1-line block ×4, first 2 shown]
	v_fma_f32 v7, -0.5, v7, v83
	v_fmamk_f32 v82, v17, 0xbf737871, v7
	v_fmac_f32_e32 v7, 0x3f737871, v17
	v_sub_f32_e32 v17, v119, v115
	v_fmac_f32_e32 v82, 0x3f167918, v12
	v_fmac_f32_e32 v7, 0xbf167918, v12
	v_sub_f32_e32 v12, v102, v114
	v_fmac_f32_e32 v82, 0x3e9e377a, v4
	v_fmac_f32_e32 v7, 0x3e9e377a, v4
	v_mul_f32_e32 v83, 0xbf737871, v82
	v_mul_f32_e32 v82, 0x3e9e377a, v82
	v_mul_f32_e32 v86, 0xbf737871, v7
	v_mul_f32_e32 v87, 0xbe9e377a, v7
	v_fmac_f32_e32 v83, 0x3e9e377a, v6
	v_fmac_f32_e32 v82, 0x3f737871, v6
	;; [unrolled: 1-line block ×4, first 2 shown]
	v_add_f32_e32 v4, v104, v83
	v_add_f32_e32 v5, v105, v82
	;; [unrolled: 1-line block ×4, first 2 shown]
	v_sub_f32_e32 v1, v100, v86
	ds_write_b128 v0, v[4:7] offset:16
	v_sub_f32_e32 v6, v19, v18
	v_sub_f32_e32 v7, v156, v159
	v_add_f32_e32 v4, v163, v8
	v_add_f32_e32 v5, v10, v9
	ds_write_b128 v0, v[4:7] offset:32
	v_sub_f32_e32 v5, v105, v82
	buffer_load_dword v105, off, s[20:23], 0 offset:296 ; 4-byte Folded Reload
	v_sub_f32_e32 v4, v104, v83
	v_add_f32_e32 v6, v107, v119
	v_sub_f32_e32 v7, v106, v118
	ds_write_b128 v0, v[2:5] offset:48
	v_sub_f32_e32 v3, v163, v8
	v_sub_f32_e32 v2, v101, v87
	;; [unrolled: 1-line block ×6, first 2 shown]
	v_fma_f32 v6, -0.5, v6, v139
	ds_write_b128 v0, v[1:4] offset:64
	v_add_f32_e32 v0, v138, v102
	v_add_f32_e32 v1, v139, v103
	;; [unrolled: 1-line block ×4, first 2 shown]
	v_sub_f32_e32 v4, v107, v119
	v_add_f32_e32 v0, v0, v106
	v_add_f32_e32 v1, v1, v107
	v_sub_f32_e32 v3, v102, v106
	v_fma_f32 v99, -0.5, v2, v138
	v_fmamk_f32 v101, v12, 0x3f737871, v6
	v_add_f32_e32 v0, v0, v118
	v_add_f32_e32 v1, v1, v119
	;; [unrolled: 1-line block ×3, first 2 shown]
	v_fmamk_f32 v100, v10, 0xbf737871, v99
	v_fmac_f32_e32 v101, 0x3f167918, v7
	v_add_f32_e32 v18, v0, v114
	v_add_f32_e32 v19, v1, v115
	v_sub_f32_e32 v0, v128, v132
	v_sub_f32_e32 v1, v120, v124
	v_fmac_f32_e32 v100, 0xbf167918, v4
	v_sub_f32_e32 v5, v106, v102
	v_sub_f32_e32 v9, v107, v103
	v_fmac_f32_e32 v101, 0x3e9e377a, v8
	v_add_f32_e32 v16, v0, v1
	v_sub_f32_e32 v0, v129, v133
	v_sub_f32_e32 v1, v121, v125
	v_fmac_f32_e32 v100, 0x3e9e377a, v14
	v_fmac_f32_e32 v139, -0.5, v13
	v_fmac_f32_e32 v99, 0x3f737871, v10
	v_fmac_f32_e32 v6, 0xbf737871, v12
	v_add_f32_e32 v82, v0, v1
	v_add_f32_e32 v0, v132, v124
	v_mov_b32_e32 v114, v20
	v_fmac_f32_e32 v99, 0x3f167918, v4
	v_fmac_f32_e32 v6, 0xbf167918, v7
	v_fma_f32 v83, -0.5, v0, v108
	v_add_f32_e32 v0, v133, v125
	v_fmac_f32_e32 v99, 0x3e9e377a, v14
	v_fmac_f32_e32 v6, 0x3e9e377a, v8
	v_sub_f32_e32 v14, v92, v96
	v_fmamk_f32 v1, v91, 0xbf737871, v83
	v_fma_f32 v86, -0.5, v0, v109
	v_fmac_f32_e32 v83, 0x3f737871, v91
	v_sub_f32_e32 v8, v85, v89
	v_fmac_f32_e32 v1, 0xbf167918, v94
	v_fmamk_f32 v0, v87, 0x3f737871, v86
	v_fmac_f32_e32 v86, 0xbf737871, v87
	v_fmac_f32_e32 v83, 0x3f167918, v94
	;; [unrolled: 1-line block ×6, first 2 shown]
	v_sub_f32_e32 v16, v93, v97
	v_mul_f32_e32 v98, 0x3f167918, v1
	v_fmac_f32_e32 v0, 0x3e9e377a, v82
	v_fmac_f32_e32 v86, 0x3e9e377a, v82
	v_add_f32_e32 v82, v134, v126
	v_add_f32_e32 v8, v8, v16
	v_mul_f32_e32 v95, 0xbf167918, v0
	v_fmac_f32_e32 v98, 0x3f4f1bbd, v0
	v_add_f32_e32 v0, v108, v128
	v_fma_f32 v82, -0.5, v82, v110
	v_fmac_f32_e32 v95, 0x3f4f1bbd, v1
	v_add_f32_e32 v1, v109, v129
	v_add_f32_e32 v0, v0, v132
	;; [unrolled: 1-line block ×11, first 2 shown]
	s_waitcnt vmcnt(0)
	ds_write_b128 v105, v[0:3]
	v_add_f32_e32 v0, v5, v15
	v_fma_f32 v5, -0.5, v11, v138
	v_sub_f32_e32 v1, v124, v120
	v_sub_f32_e32 v3, v125, v121
	v_fmamk_f32 v11, v4, 0x3f737871, v5
	v_fmac_f32_e32 v5, 0xbf737871, v4
	v_mul_f32_e32 v4, 0xbf167918, v86
	v_fmac_f32_e32 v11, 0xbf167918, v10
	v_fmac_f32_e32 v5, 0x3f167918, v10
	;; [unrolled: 1-line block ×3, first 2 shown]
	v_sub_f32_e32 v10, v85, v93
	v_fmac_f32_e32 v11, 0x3e9e377a, v0
	v_fmac_f32_e32 v5, 0x3e9e377a, v0
	v_add_f32_e32 v0, v9, v17
	v_fmamk_f32 v9, v7, 0xbf737871, v139
	v_fmac_f32_e32 v139, 0x3f737871, v7
	v_mul_f32_e32 v7, 0xbf4f1bbd, v86
	v_add_f32_e32 v86, v135, v127
	v_fmac_f32_e32 v9, 0x3f167918, v12
	v_fmac_f32_e32 v139, 0xbf167918, v12
	;; [unrolled: 1-line block ×3, first 2 shown]
	v_sub_f32_e32 v12, v84, v92
	v_fma_f32 v86, -0.5, v86, v111
	v_fmac_f32_e32 v9, 0x3e9e377a, v0
	v_fmac_f32_e32 v139, 0x3e9e377a, v0
	v_sub_f32_e32 v0, v132, v128
	v_sub_f32_e32 v83, v135, v127
	v_add_f32_e32 v0, v0, v1
	v_add_f32_e32 v1, v128, v120
	v_fma_f32 v1, -0.5, v1, v108
	v_fmamk_f32 v2, v94, 0x3f737871, v1
	v_fmac_f32_e32 v1, 0xbf737871, v94
	v_sub_f32_e32 v94, v122, v126
	v_fmac_f32_e32 v2, 0xbf167918, v91
	v_fmac_f32_e32 v1, 0x3f167918, v91
	v_add_f32_e32 v91, v130, v122
	v_fmac_f32_e32 v2, 0x3e9e377a, v0
	v_fmac_f32_e32 v1, 0x3e9e377a, v0
	v_sub_f32_e32 v0, v133, v129
	v_add_f32_e32 v0, v0, v3
	v_add_f32_e32 v3, v129, v121
	v_fma_f32 v3, -0.5, v3, v109
	v_add_nc_u32_e32 v109, 0x1000, v140
	v_fmamk_f32 v13, v90, 0xbf737871, v3
	v_fmac_f32_e32 v3, 0x3f737871, v90
	v_sub_f32_e32 v90, v131, v123
	v_fmac_f32_e32 v13, 0x3f167918, v87
	v_fmac_f32_e32 v3, 0xbf167918, v87
	v_sub_f32_e32 v87, v134, v126
	v_fmac_f32_e32 v13, 0x3e9e377a, v0
	v_fmac_f32_e32 v3, 0x3e9e377a, v0
	v_mul_f32_e32 v15, 0xbf737871, v13
	v_mul_f32_e32 v13, 0x3e9e377a, v13
	v_mul_f32_e32 v17, 0xbf737871, v3
	v_mul_f32_e32 v104, 0xbe9e377a, v3
	v_fmac_f32_e32 v15, 0x3e9e377a, v2
	v_fmac_f32_e32 v13, 0x3f737871, v2
	;; [unrolled: 1-line block ×4, first 2 shown]
	v_add_f32_e32 v0, v11, v15
	v_add_f32_e32 v1, v9, v13
	;; [unrolled: 1-line block ×4, first 2 shown]
	ds_write_b128 v105, v[0:3] offset:16
	v_sub_f32_e32 v2, v18, v102
	buffer_load_dword v102, off, s[20:23], 0 offset:308 ; 4-byte Folded Reload
	v_sub_f32_e32 v3, v19, v103
	v_add_f32_e32 v0, v99, v4
	v_add_f32_e32 v1, v6, v7
	ds_write_b128 v105, v[0:3] offset:32
	v_sub_f32_e32 v0, v100, v95
	v_sub_f32_e32 v2, v11, v15
	;; [unrolled: 1-line block ×4, first 2 shown]
	v_add_f32_e32 v11, v84, v92
	v_sub_f32_e32 v15, v96, v92
	v_add_f32_e32 v13, v85, v93
	v_sub_f32_e32 v9, v89, v85
	ds_write_b128 v105, v[0:3] offset:48
	v_sub_f32_e32 v1, v139, v104
	v_sub_f32_e32 v0, v5, v17
	;; [unrolled: 1-line block ×5, first 2 shown]
	v_add_f32_e32 v6, v89, v97
	v_sub_f32_e32 v7, v88, v96
	v_sub_f32_e32 v4, v89, v97
	ds_write_b128 v105, v[0:3] offset:64
	v_add_f32_e32 v0, v80, v84
	v_add_f32_e32 v1, v81, v85
	;; [unrolled: 1-line block ×3, first 2 shown]
	v_sub_f32_e32 v3, v84, v88
	v_sub_f32_e32 v84, v130, v134
	v_add_f32_e32 v0, v0, v88
	v_add_f32_e32 v1, v1, v89
	v_sub_f32_e32 v88, v131, v135
	v_fma_f32 v6, -0.5, v6, v81
	v_add_f32_e32 v16, v84, v94
	v_add_f32_e32 v0, v0, v96
	;; [unrolled: 1-line block ×3, first 2 shown]
	v_sub_f32_e32 v96, v123, v127
	v_fmamk_f32 v101, v12, 0x3f737871, v6
	v_add_f32_e32 v14, v3, v14
	v_add_f32_e32 v18, v0, v92
	;; [unrolled: 1-line block ×5, first 2 shown]
	v_sub_f32_e32 v92, v130, v122
	v_add_f32_e32 v84, v88, v96
	v_fma_f32 v96, -0.5, v2, v80
	v_add_f32_e32 v0, v0, v134
	v_add_f32_e32 v1, v1, v135
	v_fmac_f32_e32 v101, 0x3f167918, v7
	v_sub_f32_e32 v17, v97, v93
	v_fmamk_f32 v100, v10, 0xbf737871, v96
	v_add_f32_e32 v0, v0, v126
	v_add_f32_e32 v1, v1, v127
	v_fmac_f32_e32 v101, 0x3e9e377a, v8
	v_add_f32_e32 v93, v131, v123
	v_fmac_f32_e32 v100, 0xbf167918, v4
	v_add_f32_e32 v98, v0, v122
	v_add_f32_e32 v99, v1, v123
	v_fmamk_f32 v0, v92, 0x3f737871, v86
	v_fmamk_f32 v1, v90, 0xbf737871, v82
	v_fmac_f32_e32 v100, 0x3e9e377a, v14
	v_fmac_f32_e32 v111, -0.5, v93
	v_sub_f32_e32 v89, v135, v131
	v_fmac_f32_e32 v0, 0x3f167918, v87
	v_fmac_f32_e32 v1, 0xbf167918, v83
	v_sub_f32_e32 v97, v127, v123
	v_fmac_f32_e32 v81, -0.5, v13
	v_sub_f32_e32 v85, v134, v130
	v_fmac_f32_e32 v0, 0x3e9e377a, v84
	v_fmac_f32_e32 v1, 0x3e9e377a, v16
	v_sub_f32_e32 v95, v126, v122
	v_fmac_f32_e32 v86, 0xbf737871, v92
	v_fmac_f32_e32 v82, 0x3f737871, v90
	v_mul_f32_e32 v88, 0xbf167918, v0
	v_mul_f32_e32 v94, 0x3f167918, v1
	v_fmac_f32_e32 v96, 0x3f737871, v10
	v_fmac_f32_e32 v86, 0xbf167918, v87
	v_fmac_f32_e32 v6, 0xbf737871, v12
	v_fmac_f32_e32 v88, 0x3f4f1bbd, v1
	v_fmac_f32_e32 v94, 0x3f4f1bbd, v0
	v_add_f32_e32 v0, v18, v98
	v_add_f32_e32 v1, v19, v99
	v_fmac_f32_e32 v82, 0x3f167918, v83
	v_add_f32_e32 v2, v100, v88
	v_add_f32_e32 v3, v101, v94
	v_fmac_f32_e32 v86, 0x3e9e377a, v84
	v_fmac_f32_e32 v96, 0x3f167918, v4
	v_fmac_f32_e32 v6, 0xbf167918, v7
	v_fmac_f32_e32 v82, 0x3e9e377a, v16
	v_fmac_f32_e32 v96, 0x3e9e377a, v14
	v_fmac_f32_e32 v6, 0x3e9e377a, v8
	s_waitcnt vmcnt(0)
	ds_write_b128 v102, v[0:3]
	v_add_f32_e32 v3, v5, v15
	v_fma_f32 v5, -0.5, v11, v80
	v_fmamk_f32 v1, v87, 0xbf737871, v111
	v_fmac_f32_e32 v111, 0x3f737871, v87
	v_add_f32_e32 v0, v89, v97
	v_fma_f32 v2, -0.5, v91, v110
	v_fmamk_f32 v11, v4, 0x3f737871, v5
	v_fmac_f32_e32 v5, 0xbf737871, v4
	v_fmac_f32_e32 v111, 0xbf167918, v92
	v_fmac_f32_e32 v1, 0x3f167918, v92
	v_mul_f32_e32 v4, 0xbf167918, v86
	v_fmac_f32_e32 v11, 0xbf167918, v10
	v_fmac_f32_e32 v5, 0x3f167918, v10
	;; [unrolled: 1-line block ×4, first 2 shown]
	v_fmamk_f32 v0, v83, 0x3f737871, v2
	v_fmac_f32_e32 v11, 0x3e9e377a, v3
	v_fmac_f32_e32 v5, 0x3e9e377a, v3
	v_add_f32_e32 v3, v9, v17
	v_fmamk_f32 v9, v7, 0xbf737871, v81
	v_fmac_f32_e32 v81, 0x3f737871, v7
	v_fmac_f32_e32 v2, 0xbf737871, v83
	;; [unrolled: 1-line block ×3, first 2 shown]
	v_mul_f32_e32 v89, 0xbf737871, v111
	v_fmac_f32_e32 v9, 0x3f167918, v12
	v_fmac_f32_e32 v81, 0xbf167918, v12
	;; [unrolled: 1-line block ×3, first 2 shown]
	v_mul_f32_e32 v91, 0xbe9e377a, v111
	v_mul_f32_e32 v13, 0xbf737871, v1
	v_fmac_f32_e32 v9, 0x3e9e377a, v3
	v_fmac_f32_e32 v81, 0x3e9e377a, v3
	v_add_f32_e32 v3, v85, v95
	v_mul_f32_e32 v15, 0x3e9e377a, v1
	v_mul_f32_e32 v7, 0xbf4f1bbd, v86
	v_fmac_f32_e32 v4, 0xbf4f1bbd, v82
	v_mov_b32_e32 v111, v21
	v_fmac_f32_e32 v0, 0x3e9e377a, v3
	v_fmac_f32_e32 v2, 0x3e9e377a, v3
	;; [unrolled: 1-line block ×3, first 2 shown]
	v_add_nc_u32_e32 v110, 0x2000, v140
	v_fmac_f32_e32 v13, 0x3e9e377a, v0
	v_fmac_f32_e32 v15, 0x3f737871, v0
	;; [unrolled: 1-line block ×4, first 2 shown]
	v_add_f32_e32 v0, v11, v13
	v_add_f32_e32 v1, v9, v15
	;; [unrolled: 1-line block ×4, first 2 shown]
	ds_write_b128 v102, v[0:3] offset:16
	v_sub_f32_e32 v2, v18, v98
	v_sub_f32_e32 v3, v19, v99
	v_add_f32_e32 v0, v96, v4
	v_add_f32_e32 v1, v6, v7
	ds_write_b128 v102, v[0:3] offset:32
	v_sub_f32_e32 v0, v100, v88
	v_sub_f32_e32 v2, v11, v13
	;; [unrolled: 1-line block ×4, first 2 shown]
	ds_write_b128 v102, v[0:3] offset:48
	v_sub_f32_e32 v1, v81, v91
	v_sub_f32_e32 v0, v5, v89
	;; [unrolled: 1-line block ×4, first 2 shown]
	ds_write_b128 v102, v[0:3] offset:64
	s_waitcnt lgkmcnt(0)
	s_barrier
	buffer_gl0_inv
	ds_read2_b64 v[0:3], v210 offset0:64 offset1:160
	s_clause 0x1
	buffer_load_dword v4, off, s[20:23], 0 offset:528
	buffer_load_dword v5, off, s[20:23], 0 offset:532
	s_waitcnt lgkmcnt(0)
	v_mul_f32_e32 v85, v165, v3
	v_fmac_f32_e32 v85, v164, v2
	s_waitcnt vmcnt(0)
	v_mul_f32_e32 v8, v5, v1
	v_fmac_f32_e32 v8, v4, v0
	v_mul_f32_e32 v0, v5, v0
	v_fma_f32 v11, v4, v1, -v0
	v_mul_f32_e32 v0, v165, v2
	v_fma_f32 v86, v164, v3, -v0
	ds_read2_b64 v[0:3], v226 offset0:128 offset1:224
	s_waitcnt lgkmcnt(0)
	v_mul_f32_e32 v83, v161, v1
	v_mul_f32_e32 v80, v200, v3
	v_fmac_f32_e32 v83, v160, v0
	v_mul_f32_e32 v0, v161, v0
	v_fmac_f32_e32 v80, v199, v2
	v_fma_f32 v84, v160, v1, -v0
	v_mul_f32_e32 v0, v200, v2
	v_fma_f32 v81, v199, v3, -v0
	ds_read2_b64 v[0:3], v22 offset1:96
	s_clause 0x1
	buffer_load_dword v4, off, s[20:23], 0 offset:520
	buffer_load_dword v5, off, s[20:23], 0 offset:524
	ds_read2_b64 v[12:15], v140 offset1:96
	s_waitcnt lgkmcnt(1)
	v_mul_f32_e32 v82, v79, v1
	v_fmac_f32_e32 v82, v78, v0
	v_mul_f32_e32 v0, v79, v0
	v_fma_f32 v79, v78, v1, -v0
	s_waitcnt vmcnt(0)
	v_mul_f32_e32 v10, v5, v3
	v_fmac_f32_e32 v10, v4, v2
	v_mul_f32_e32 v2, v5, v2
	v_fma_f32 v18, v4, v3, -v2
	ds_read2_b64 v[0:3], v23 offset0:64 offset1:160
	s_waitcnt lgkmcnt(0)
	v_mul_f32_e32 v78, v77, v3
	v_fmac_f32_e32 v78, v76, v2
	v_mul_f32_e32 v2, v77, v2
	v_mul_f32_e32 v77, v73, v1
	v_fma_f32 v76, v76, v3, -v2
	v_fmac_f32_e32 v77, v72, v0
	v_mul_f32_e32 v0, v73, v0
	v_fma_f32 v72, v72, v1, -v0
	ds_read2_b64 v[0:3], v20 offset0:64 offset1:160
	s_waitcnt lgkmcnt(0)
	v_mul_f32_e32 v73, v75, v3
	v_fmac_f32_e32 v73, v74, v2
	v_mul_f32_e32 v2, v75, v2
	v_mul_f32_e32 v75, v144, v1
	v_fma_f32 v74, v74, v3, -v2
	v_fmac_f32_e32 v75, v143, v0
	v_mul_f32_e32 v0, v144, v0
	v_fma_f32 v22, v143, v1, -v0
	ds_read2_b64 v[0:3], v223 offset1:96
	s_waitcnt lgkmcnt(0)
	v_mul_f32_e32 v23, v142, v3
	v_mul_f32_e32 v88, v150, v1
	v_fmac_f32_e32 v23, v141, v2
	v_mul_f32_e32 v2, v142, v2
	v_fmac_f32_e32 v88, v149, v0
	v_mul_f32_e32 v0, v150, v0
	v_fma_f32 v87, v141, v3, -v2
	v_fma_f32 v89, v149, v1, -v0
	ds_read2_b64 v[0:3], v162 offset0:128 offset1:224
	s_waitcnt lgkmcnt(0)
	v_mul_f32_e32 v90, v152, v3
	v_mul_f32_e32 v19, v222, v1
	v_fmac_f32_e32 v90, v151, v2
	v_mul_f32_e32 v2, v152, v2
	v_fmac_f32_e32 v19, v221, v0
	v_mul_f32_e32 v0, v222, v0
	v_fma_f32 v91, v151, v3, -v2
	v_fma_f32 v20, v221, v1, -v0
	ds_read2_b64 v[1:4], v21 offset0:64 offset1:160
	s_waitcnt lgkmcnt(0)
	v_mul_f32_e32 v0, v220, v3
	v_mul_f32_e32 v21, v220, v4
	v_fma_f32 v92, v219, v4, -v0
	v_mul_f32_e32 v0, v71, v2
	v_fmac_f32_e32 v21, v219, v3
	v_fmac_f32_e32 v0, v70, v1
	v_mul_f32_e32 v1, v71, v1
	v_add_f32_e32 v100, v21, v10
	v_sub_f32_e32 v101, v21, v10
	v_fma_f32 v1, v70, v2, -v1
	ds_read2_b64 v[2:5], v255 offset1:96
	s_waitcnt lgkmcnt(0)
	v_mul_f32_e32 v6, v69, v5
	v_mul_f32_e32 v16, v65, v3
	v_fmac_f32_e32 v6, v68, v4
	v_mul_f32_e32 v4, v69, v4
	v_fmac_f32_e32 v16, v64, v2
	v_mul_f32_e32 v2, v65, v2
	v_fma_f32 v7, v68, v5, -v4
	v_fma_f32 v17, v64, v3, -v2
	ds_read2_b64 v[2:5], v110 offset0:128 offset1:224
	s_waitcnt lgkmcnt(0)
	v_mul_f32_e32 v9, v67, v5
	v_mul_f32_e32 v65, v171, v3
	v_fmac_f32_e32 v9, v66, v4
	v_mul_f32_e32 v4, v67, v4
	v_fmac_f32_e32 v65, v170, v2
	v_mul_f32_e32 v2, v171, v2
	v_fma_f32 v64, v66, v5, -v4
	v_fma_f32 v66, v170, v3, -v2
	ds_read2_b64 v[2:5], v109 offset0:64 offset1:160
	;; [unrolled: 10-line block ×4, first 2 shown]
	v_sub_f32_e32 v99, v95, v20
	s_waitcnt lgkmcnt(0)
	v_mul_f32_e32 v96, v202, v5
	v_fmac_f32_e32 v96, v201, v4
	v_mul_f32_e32 v4, v202, v4
	v_fma_f32 v97, v201, v5, -v4
	v_add_f32_e32 v4, v13, v95
	v_add_f32_e32 v5, v12, v94
	v_add_f32_e32 v98, v4, v20
	v_add_f32_e32 v4, v95, v20
	v_add_f32_e32 v95, v5, v19
	v_add_f32_e32 v5, v94, v19
	v_sub_f32_e32 v94, v94, v19
	v_add_f32_e32 v19, v92, v18
	v_add_f32_e32 v20, v97, v92
	v_sub_f32_e32 v92, v92, v18
	v_fma_f32 v104, -0.5, v5, v12
	v_fma_f32 v105, -0.5, v4, v13
	v_fmac_f32_e32 v97, -0.5, v19
	v_add_f32_e32 v19, v96, v21
	v_fmac_f32_e32 v96, -0.5, v100
	v_add_f32_e32 v100, v20, v18
	v_fmamk_f32 v106, v99, 0xbf5db3d7, v104
	v_fmamk_f32 v18, v101, 0x3f5db3d7, v97
	v_add_f32_e32 v10, v19, v10
	v_fmamk_f32 v107, v94, 0x3f5db3d7, v105
	v_add_f32_e32 v5, v98, v100
	v_fmac_f32_e32 v97, 0xbf5db3d7, v101
	v_mul_f32_e32 v102, 0xbf5db3d7, v18
	v_mul_f32_e32 v103, 0.5, v18
	v_fmamk_f32 v18, v92, 0xbf5db3d7, v96
	v_add_f32_e32 v4, v95, v10
	v_fmac_f32_e32 v96, 0x3f5db3d7, v92
	v_mul_f32_e32 v92, -0.5, v97
	v_fmac_f32_e32 v104, 0x3f5db3d7, v99
	v_fmac_f32_e32 v102, 0.5, v18
	v_fmac_f32_e32 v103, 0x3f5db3d7, v18
	ds_read2_b64 v[18:21], v205 offset0:64 offset1:160
	s_waitcnt lgkmcnt(0)
	s_barrier
	buffer_gl0_inv
	buffer_load_dword v108, off, s[20:23], 0 offset:516 ; 4-byte Folded Reload
	v_add_f32_e32 v12, v106, v102
	v_add_f32_e32 v13, v107, v103
	v_fmac_f32_e32 v92, 0x3f5db3d7, v96
	v_fmac_f32_e32 v105, 0xbf5db3d7, v94
	s_waitcnt vmcnt(0)
	ds_write2_b64 v108, v[4:5], v[12:13] offset1:10
	v_sub_f32_e32 v4, v95, v10
	v_mul_f32_e32 v10, 0xbf5db3d7, v97
	v_sub_f32_e32 v5, v98, v100
	v_add_f32_e32 v13, v105, v92
	v_fmac_f32_e32 v10, -0.5, v96
	buffer_load_dword v96, off, s[20:23], 0 offset:512 ; 4-byte Folded Reload
	v_add_f32_e32 v12, v104, v10
	ds_write2_b64 v108, v[12:13], v[4:5] offset0:20 offset1:30
	v_sub_f32_e32 v4, v106, v102
	v_sub_f32_e32 v5, v107, v103
	;; [unrolled: 1-line block ×4, first 2 shown]
	v_add_f32_e32 v10, v70, v89
	ds_write2_b64 v108, v[4:5], v[12:13] offset0:40 offset1:50
	v_add_f32_e32 v4, v15, v93
	v_add_f32_e32 v5, v93, v91
	v_sub_f32_e32 v12, v93, v91
	v_add_f32_e32 v13, v4, v91
	v_fmac_f32_e32 v15, -0.5, v5
	v_add_f32_e32 v4, v14, v71
	v_add_f32_e32 v5, v89, v11
	v_sub_f32_e32 v89, v89, v11
	v_add_f32_e32 v91, v4, v90
	v_add_f32_e32 v4, v71, v90
	v_sub_f32_e32 v71, v71, v90
	v_fmac_f32_e32 v70, -0.5, v5
	v_add_f32_e32 v5, v69, v88
	v_add_f32_e32 v90, v88, v8
	v_sub_f32_e32 v88, v88, v8
	v_fma_f32 v14, -0.5, v4, v14
	v_fmamk_f32 v95, v71, 0x3f5db3d7, v15
	v_add_f32_e32 v8, v5, v8
	v_fmac_f32_e32 v69, -0.5, v90
	v_fmamk_f32 v5, v88, 0x3f5db3d7, v70
	v_add_f32_e32 v90, v10, v11
	v_fmamk_f32 v94, v12, 0xbf5db3d7, v14
	v_add_f32_e32 v4, v91, v8
	v_fmac_f32_e32 v70, 0xbf5db3d7, v88
	v_mul_f32_e32 v92, 0xbf5db3d7, v5
	v_mul_f32_e32 v93, 0.5, v5
	v_fmamk_f32 v5, v89, 0xbf5db3d7, v69
	v_fmac_f32_e32 v14, 0x3f5db3d7, v12
	v_fmac_f32_e32 v69, 0x3f5db3d7, v89
	v_mul_f32_e32 v12, -0.5, v70
	v_fmac_f32_e32 v15, 0xbf5db3d7, v71
	v_fmac_f32_e32 v92, 0.5, v5
	v_fmac_f32_e32 v93, 0x3f5db3d7, v5
	v_add_f32_e32 v5, v13, v90
	v_fmac_f32_e32 v12, 0x3f5db3d7, v69
	v_add_f32_e32 v10, v94, v92
	v_add_f32_e32 v11, v95, v93
	s_waitcnt vmcnt(0)
	ds_write2_b64 v96, v[4:5], v[10:11] offset1:10
	v_sub_f32_e32 v4, v91, v8
	v_mul_f32_e32 v8, 0xbf5db3d7, v70
	v_sub_f32_e32 v5, v13, v90
	v_add_f32_e32 v11, v15, v12
	v_fmac_f32_e32 v8, -0.5, v69
	v_add_f32_e32 v10, v14, v8
	ds_write2_b64 v96, v[10:11], v[4:5] offset0:20 offset1:30
	v_sub_f32_e32 v5, v15, v12
	v_sub_f32_e32 v4, v14, v8
	;; [unrolled: 1-line block ×6, first 2 shown]
	v_add_f32_e32 v15, v23, v85
	ds_write2_b64 v96, v[10:11], v[4:5] offset0:40 offset1:50
	v_add_f32_e32 v5, v18, v65
	v_add_f32_e32 v4, v19, v66
	;; [unrolled: 1-line block ×6, first 2 shown]
	buffer_load_dword v75, off, s[20:23], 0 offset:508 ; 4-byte Folded Reload
	v_add_f32_e32 v8, v4, v22
	v_add_f32_e32 v4, v66, v22
	v_fmac_f32_e32 v68, -0.5, v10
	v_add_f32_e32 v10, v67, v23
	v_sub_f32_e32 v22, v23, v85
	v_fmac_f32_e32 v67, -0.5, v15
	v_sub_f32_e32 v15, v87, v86
	v_fma_f32 v18, -0.5, v5, v18
	v_add_f32_e32 v23, v10, v85
	v_fmamk_f32 v10, v22, 0x3f5db3d7, v68
	v_fma_f32 v19, -0.5, v4, v19
	v_add_f32_e32 v65, v11, v86
	v_fmamk_f32 v70, v12, 0xbf5db3d7, v18
	v_add_f32_e32 v4, v13, v23
	v_mul_f32_e32 v66, 0xbf5db3d7, v10
	v_mul_f32_e32 v69, 0.5, v10
	v_fmamk_f32 v10, v15, 0xbf5db3d7, v67
	v_fmamk_f32 v71, v14, 0x3f5db3d7, v19
	v_add_f32_e32 v5, v8, v65
	v_fmac_f32_e32 v68, 0xbf5db3d7, v22
	v_fmac_f32_e32 v18, 0x3f5db3d7, v12
	v_fmac_f32_e32 v66, 0.5, v10
	v_fmac_f32_e32 v69, 0x3f5db3d7, v10
	v_fmac_f32_e32 v67, 0x3f5db3d7, v15
	v_mul_f32_e32 v12, -0.5, v68
	v_fmac_f32_e32 v19, 0xbf5db3d7, v14
	v_add_f32_e32 v10, v70, v66
	v_add_f32_e32 v11, v71, v69
	v_sub_f32_e32 v14, v77, v83
	v_fmac_f32_e32 v12, 0x3f5db3d7, v67
	s_waitcnt vmcnt(0)
	ds_write2_b64 v75, v[4:5], v[10:11] offset1:10
	v_sub_f32_e32 v5, v8, v65
	v_mul_f32_e32 v8, 0xbf5db3d7, v68
	v_sub_f32_e32 v4, v13, v23
	v_add_f32_e32 v11, v19, v12
	v_sub_f32_e32 v13, v9, v73
	v_fmac_f32_e32 v8, -0.5, v67
	v_add_f32_e32 v10, v18, v8
	ds_write2_b64 v75, v[10:11], v[4:5] offset0:20 offset1:30
	v_sub_f32_e32 v4, v70, v66
	buffer_load_dword v66, off, s[20:23], 0 offset:504 ; 4-byte Folded Reload
	v_sub_f32_e32 v5, v71, v69
	v_sub_f32_e32 v10, v18, v8
	v_sub_f32_e32 v11, v19, v12
	v_add_f32_e32 v8, v17, v72
	v_sub_f32_e32 v18, v72, v84
	ds_write2_b64 v75, v[4:5], v[10:11] offset0:40 offset1:50
	v_add_f32_e32 v4, v21, v64
	v_add_f32_e32 v5, v64, v74
	v_sub_f32_e32 v10, v64, v74
	v_add_f32_e32 v19, v8, v84
	v_add_f32_e32 v11, v4, v74
	v_fmac_f32_e32 v21, -0.5, v5
	v_add_f32_e32 v4, v20, v9
	v_add_f32_e32 v5, v72, v84
	v_fmamk_f32 v65, v13, 0x3f5db3d7, v21
	v_add_f32_e32 v12, v4, v73
	v_add_f32_e32 v4, v9, v73
	v_fmac_f32_e32 v17, -0.5, v5
	v_add_f32_e32 v5, v16, v77
	v_add_f32_e32 v9, v77, v83
	v_fmac_f32_e32 v21, 0xbf5db3d7, v13
	v_fma_f32 v20, -0.5, v4, v20
	v_add_f32_e32 v15, v5, v83
	v_fmac_f32_e32 v16, -0.5, v9
	v_fmamk_f32 v5, v14, 0x3f5db3d7, v17
	v_fmamk_f32 v64, v10, 0xbf5db3d7, v20
	v_fmac_f32_e32 v17, 0xbf5db3d7, v14
	v_add_f32_e32 v4, v12, v15
	v_fmac_f32_e32 v20, 0x3f5db3d7, v10
	v_mul_f32_e32 v22, 0xbf5db3d7, v5
	v_mul_f32_e32 v23, 0.5, v5
	v_fmamk_f32 v5, v18, 0xbf5db3d7, v16
	v_fmac_f32_e32 v16, 0x3f5db3d7, v18
	v_mul_f32_e32 v10, 0xbf5db3d7, v17
	v_sub_f32_e32 v14, v76, v81
	v_fmac_f32_e32 v22, 0.5, v5
	v_fmac_f32_e32 v23, 0x3f5db3d7, v5
	v_add_f32_e32 v5, v11, v19
	v_fmac_f32_e32 v10, -0.5, v16
	v_add_f32_e32 v8, v64, v22
	v_add_f32_e32 v9, v65, v23
	s_waitcnt vmcnt(0)
	ds_write2_b64 v66, v[4:5], v[8:9] offset1:10
	v_sub_f32_e32 v5, v11, v19
	v_mul_f32_e32 v11, -0.5, v17
	v_sub_f32_e32 v4, v12, v15
	v_add_f32_e32 v8, v20, v10
	v_sub_f32_e32 v12, v78, v80
	v_fmac_f32_e32 v11, 0x3f5db3d7, v16
	v_add_f32_e32 v9, v21, v11
	ds_write2_b64 v66, v[8:9], v[4:5] offset0:20 offset1:30
	v_sub_f32_e32 v4, v20, v10
	buffer_load_dword v20, off, s[20:23], 0 offset:500 ; 4-byte Folded Reload
	v_sub_f32_e32 v5, v21, v11
	v_sub_f32_e32 v8, v64, v22
	;; [unrolled: 1-line block ×4, first 2 shown]
	ds_write2_b64 v66, v[8:9], v[4:5] offset0:40 offset1:50
	v_add_f32_e32 v4, v3, v1
	v_add_f32_e32 v5, v1, v79
	v_sub_f32_e32 v8, v1, v79
	v_add_f32_e32 v1, v2, v0
	v_add_f32_e32 v9, v4, v79
	v_fmac_f32_e32 v3, -0.5, v5
	v_add_f32_e32 v4, v7, v76
	v_add_f32_e32 v10, v1, v82
	;; [unrolled: 1-line block ×6, first 2 shown]
	v_fmamk_f32 v19, v11, 0x3f5db3d7, v3
	v_fma_f32 v2, -0.5, v1, v2
	v_fmac_f32_e32 v7, -0.5, v0
	v_add_f32_e32 v0, v6, v78
	v_fmac_f32_e32 v6, -0.5, v5
	v_add_f32_e32 v1, v9, v15
	v_fmamk_f32 v18, v8, 0xbf5db3d7, v2
	v_fmac_f32_e32 v2, 0x3f5db3d7, v8
	v_add_f32_e32 v13, v0, v80
	v_fmamk_f32 v0, v12, 0x3f5db3d7, v7
	v_fmac_f32_e32 v7, 0xbf5db3d7, v12
	v_fmac_f32_e32 v3, 0xbf5db3d7, v11
	v_mul_f32_e32 v16, 0xbf5db3d7, v0
	v_mul_f32_e32 v17, 0.5, v0
	v_fmamk_f32 v0, v14, 0xbf5db3d7, v6
	v_fmac_f32_e32 v6, 0x3f5db3d7, v14
	v_mul_f32_e32 v8, 0xbf5db3d7, v7
	v_mul_f32_e32 v7, -0.5, v7
	v_fmac_f32_e32 v16, 0.5, v0
	v_fmac_f32_e32 v17, 0x3f5db3d7, v0
	v_add_f32_e32 v0, v10, v13
	v_fmac_f32_e32 v8, -0.5, v6
	v_fmac_f32_e32 v7, 0x3f5db3d7, v6
	v_add_f32_e32 v4, v18, v16
	v_add_f32_e32 v5, v19, v17
	s_waitcnt vmcnt(0)
	ds_write2_b64 v20, v[0:1], v[4:5] offset1:10
	v_sub_f32_e32 v0, v10, v13
	v_sub_f32_e32 v1, v9, v15
	v_add_f32_e32 v4, v2, v8
	v_add_f32_e32 v5, v3, v7
	ds_write2_b64 v20, v[4:5], v[0:1] offset0:20 offset1:30
	v_sub_f32_e32 v1, v3, v7
	v_sub_f32_e32 v0, v2, v8
	;; [unrolled: 1-line block ×4, first 2 shown]
	ds_write2_b64 v20, v[2:3], v[0:1] offset0:40 offset1:50
	s_waitcnt lgkmcnt(0)
	s_barrier
	buffer_gl0_inv
	ds_read2_b64 v[0:3], v210 offset0:64 offset1:160
	s_waitcnt lgkmcnt(0)
	v_mul_f32_e32 v64, v232, v1
	v_mul_f32_e32 v23, v216, v3
	v_fmac_f32_e32 v64, v231, v0
	v_mul_f32_e32 v0, v232, v0
	v_fmac_f32_e32 v23, v215, v2
	v_fma_f32 v65, v231, v1, -v0
	v_mul_f32_e32 v0, v216, v2
	v_fma_f32 v20, v215, v3, -v0
	ds_read2_b64 v[0:3], v226 offset0:128 offset1:224
	s_waitcnt lgkmcnt(0)
	v_mul_f32_e32 v16, v214, v1
	v_mul_f32_e32 v8, v189, v3
	v_fmac_f32_e32 v16, v213, v0
	v_mul_f32_e32 v0, v214, v0
	v_fmac_f32_e32 v8, v188, v2
	v_fma_f32 v17, v213, v1, -v0
	v_mul_f32_e32 v0, v189, v2
	v_fma_f32 v9, v188, v3, -v0
	ds_read2_b64 v[0:3], v112 offset1:96
	s_clause 0x1
	buffer_load_dword v4, off, s[20:23], 0 offset:464
	buffer_load_dword v5, off, s[20:23], 0 offset:468
	s_waitcnt lgkmcnt(0)
	v_mul_f32_e32 v10, v63, v1
	v_fmac_f32_e32 v10, v62, v0
	v_mul_f32_e32 v0, v63, v0
	v_fma_f32 v11, v62, v1, -v0
	s_waitcnt vmcnt(0)
	v_mul_f32_e32 v66, v5, v3
	v_fmac_f32_e32 v66, v4, v2
	v_mul_f32_e32 v2, v5, v2
	v_fma_f32 v67, v4, v3, -v2
	ds_read2_b64 v[0:3], v113 offset0:64 offset1:160
	ds_read2_b64 v[4:7], v140 offset1:96
	s_waitcnt lgkmcnt(1)
	v_mul_f32_e32 v12, v61, v3
	v_mul_f32_e32 v21, v57, v1
	v_fmac_f32_e32 v12, v60, v2
	v_mul_f32_e32 v2, v61, v2
	v_fmac_f32_e32 v21, v56, v0
	v_mul_f32_e32 v0, v57, v0
	v_fma_f32 v13, v60, v3, -v2
	v_fma_f32 v22, v56, v1, -v0
	ds_read2_b64 v[0:3], v114 offset0:64 offset1:160
	s_waitcnt lgkmcnt(0)
	v_mul_f32_e32 v56, v59, v3
	v_fmac_f32_e32 v56, v58, v2
	v_mul_f32_e32 v2, v59, v2
	v_fma_f32 v57, v58, v3, -v2
	v_mul_f32_e32 v58, v51, v1
	v_fmac_f32_e32 v58, v50, v0
	v_mul_f32_e32 v0, v51, v0
	v_fma_f32 v50, v50, v1, -v0
	ds_read2_b64 v[0:3], v223 offset1:96
	s_waitcnt lgkmcnt(0)
	v_mul_f32_e32 v51, v49, v3
	v_fmac_f32_e32 v51, v48, v2
	v_mul_f32_e32 v2, v49, v2
	v_mul_f32_e32 v49, v41, v1
	v_fma_f32 v48, v48, v3, -v2
	v_fmac_f32_e32 v49, v40, v0
	v_mul_f32_e32 v0, v41, v0
	v_fma_f32 v41, v40, v1, -v0
	ds_read2_b64 v[0:3], v162 offset0:128 offset1:224
	s_waitcnt lgkmcnt(0)
	v_mul_f32_e32 v59, v43, v3
	v_fmac_f32_e32 v59, v42, v2
	v_mul_f32_e32 v2, v43, v2
	v_mul_f32_e32 v43, v35, v1
	v_fma_f32 v42, v42, v3, -v2
	v_fmac_f32_e32 v43, v34, v0
	v_mul_f32_e32 v0, v35, v0
	v_fma_f32 v60, v34, v1, -v0
	ds_read2_b64 v[0:3], v111 offset0:64 offset1:160
	s_waitcnt lgkmcnt(0)
	v_mul_f32_e32 v61, v33, v3
	v_mul_f32_e32 v18, v55, v1
	v_fmac_f32_e32 v61, v32, v2
	v_mul_f32_e32 v2, v33, v2
	v_fmac_f32_e32 v18, v54, v0
	v_mul_f32_e32 v0, v55, v0
	v_fma_f32 v62, v32, v3, -v2
	v_fma_f32 v19, v54, v1, -v0
	ds_read2_b64 v[0:3], v255 offset1:96
	v_sub_f32_e32 v54, v62, v67
	s_waitcnt lgkmcnt(0)
	v_mul_f32_e32 v14, v53, v3
	v_mul_f32_e32 v32, v45, v1
	v_fmac_f32_e32 v14, v52, v2
	v_mul_f32_e32 v2, v53, v2
	v_fmac_f32_e32 v32, v44, v0
	v_mul_f32_e32 v0, v45, v0
	v_fma_f32 v15, v52, v3, -v2
	v_fma_f32 v33, v44, v1, -v0
	ds_read2_b64 v[0:3], v110 offset0:128 offset1:224
	s_waitcnt lgkmcnt(0)
	v_mul_f32_e32 v34, v47, v3
	v_mul_f32_e32 v40, v39, v1
	v_fmac_f32_e32 v34, v46, v2
	v_mul_f32_e32 v2, v47, v2
	v_fmac_f32_e32 v40, v38, v0
	v_mul_f32_e32 v0, v39, v0
	v_fma_f32 v35, v46, v3, -v2
	v_fma_f32 v39, v38, v1, -v0
	ds_read2_b64 v[0:3], v109 offset0:64 offset1:160
	s_waitcnt lgkmcnt(0)
	v_mul_f32_e32 v38, v37, v3
	v_fmac_f32_e32 v38, v36, v2
	v_mul_f32_e32 v2, v37, v2
	v_mul_f32_e32 v37, v29, v1
	v_fma_f32 v36, v36, v3, -v2
	v_fmac_f32_e32 v37, v28, v0
	v_mul_f32_e32 v0, v29, v0
	v_fma_f32 v28, v28, v1, -v0
	ds_read2_b64 v[0:3], v155 offset0:64 offset1:160
	s_waitcnt lgkmcnt(0)
	v_mul_f32_e32 v29, v31, v3
	v_fmac_f32_e32 v29, v30, v2
	v_mul_f32_e32 v2, v31, v2
	v_mul_f32_e32 v31, v27, v1
	v_fma_f32 v30, v30, v3, -v2
	v_fmac_f32_e32 v31, v26, v0
	v_mul_f32_e32 v0, v27, v0
	v_fma_f32 v26, v26, v1, -v0
	ds_read2_b64 v[0:3], v196 offset0:128 offset1:224
	v_sub_f32_e32 v47, v26, v60
	s_waitcnt lgkmcnt(0)
	v_mul_f32_e32 v44, v25, v3
	v_fmac_f32_e32 v44, v24, v2
	v_mul_f32_e32 v2, v25, v2
	v_fma_f32 v45, v24, v3, -v2
	v_add_f32_e32 v2, v5, v26
	v_add_f32_e32 v3, v4, v31
	;; [unrolled: 1-line block ×8, first 2 shown]
	v_sub_f32_e32 v31, v31, v43
	v_fmac_f32_e32 v45, -0.5, v24
	v_fma_f32 v63, -0.5, v2, v5
	v_add_f32_e32 v24, v44, v61
	v_fma_f32 v62, -0.5, v3, v4
	ds_read2_b64 v[2:5], v205 offset0:64 offset1:160
	s_waitcnt lgkmcnt(0)
	s_barrier
	buffer_gl0_inv
	buffer_load_dword v68, off, s[20:23], 0 offset:352 ; 4-byte Folded Reload
	v_add_f32_e32 v26, v61, v66
	v_sub_f32_e32 v43, v61, v66
	v_add_f32_e32 v53, v24, v66
	v_add_f32_e32 v55, v25, v67
	v_fmamk_f32 v66, v47, 0xbf5db3d7, v62
	v_fmac_f32_e32 v44, -0.5, v26
	v_fmamk_f32 v24, v43, 0x3f5db3d7, v45
	v_fmac_f32_e32 v45, 0xbf5db3d7, v43
	v_fmamk_f32 v67, v31, 0x3f5db3d7, v63
	v_fmac_f32_e32 v63, 0xbf5db3d7, v31
	v_add_f32_e32 v25, v46, v55
	v_mul_f32_e32 v60, 0xbf5db3d7, v24
	v_mul_f32_e32 v61, 0.5, v24
	v_fmamk_f32 v24, v54, 0xbf5db3d7, v44
	v_fmac_f32_e32 v44, 0x3f5db3d7, v54
	v_mul_f32_e32 v31, 0xbf5db3d7, v45
	v_mul_f32_e32 v43, -0.5, v45
	v_fmac_f32_e32 v62, 0x3f5db3d7, v47
	v_fmac_f32_e32 v60, 0.5, v24
	v_fmac_f32_e32 v61, 0x3f5db3d7, v24
	v_add_f32_e32 v24, v52, v53
	v_fmac_f32_e32 v31, -0.5, v44
	v_fmac_f32_e32 v43, 0x3f5db3d7, v44
	v_add_f32_e32 v26, v66, v60
	v_add_f32_e32 v27, v67, v61
	v_sub_f32_e32 v44, v49, v64
	s_waitcnt vmcnt(0)
	ds_write2_b64 v68, v[24:25], v[26:27] offset1:60
	v_sub_f32_e32 v24, v52, v53
	v_sub_f32_e32 v25, v46, v55
	v_add_f32_e32 v26, v62, v31
	v_add_f32_e32 v27, v63, v43
	buffer_load_dword v53, off, s[20:23], 0 offset:348 ; 4-byte Folded Reload
	ds_write2_b64 v68, v[26:27], v[24:25] offset0:120 offset1:180
	v_sub_f32_e32 v26, v62, v31
	buffer_load_dword v31, off, s[20:23], 0 offset:340 ; 4-byte Folded Reload
	v_sub_f32_e32 v24, v66, v60
	v_sub_f32_e32 v25, v67, v61
	;; [unrolled: 1-line block ×3, first 2 shown]
	v_add_nc_u32_e32 v60, 0x2400, v140
	s_waitcnt vmcnt(0)
	ds_write2_b64 v31, v[24:25], v[26:27] offset0:112 offset1:172
	v_add_f32_e32 v24, v30, v42
	v_add_f32_e32 v25, v7, v30
	;; [unrolled: 1-line block ×4, first 2 shown]
	v_sub_f32_e32 v31, v29, v59
	v_fmac_f32_e32 v7, -0.5, v24
	v_add_f32_e32 v24, v49, v64
	v_sub_f32_e32 v30, v30, v42
	v_add_f32_e32 v42, v25, v42
	v_add_f32_e32 v45, v26, v64
	;; [unrolled: 1-line block ×3, first 2 shown]
	v_fmac_f32_e32 v37, -0.5, v24
	v_add_f32_e32 v24, v41, v65
	v_sub_f32_e32 v41, v41, v65
	v_fmamk_f32 v52, v31, 0x3f5db3d7, v7
	v_add_f32_e32 v25, v42, v46
	v_fmac_f32_e32 v7, 0xbf5db3d7, v31
	v_fmac_f32_e32 v28, -0.5, v24
	v_add_f32_e32 v24, v6, v29
	v_add_f32_e32 v29, v29, v59
	v_add_f32_e32 v43, v24, v59
	v_fmamk_f32 v24, v44, 0x3f5db3d7, v28
	v_fma_f32 v6, -0.5, v29, v6
	v_fmac_f32_e32 v28, 0xbf5db3d7, v44
	v_mul_f32_e32 v47, 0xbf5db3d7, v24
	v_mul_f32_e32 v49, 0.5, v24
	v_fmamk_f32 v24, v41, 0xbf5db3d7, v37
	v_fmamk_f32 v29, v30, 0xbf5db3d7, v6
	v_fmac_f32_e32 v37, 0x3f5db3d7, v41
	v_fmac_f32_e32 v6, 0x3f5db3d7, v30
	v_mul_f32_e32 v30, -0.5, v28
	v_fmac_f32_e32 v47, 0.5, v24
	v_fmac_f32_e32 v49, 0x3f5db3d7, v24
	v_mul_f32_e32 v28, 0xbf5db3d7, v28
	v_add_f32_e32 v24, v43, v45
	v_fmac_f32_e32 v30, 0x3f5db3d7, v37
	v_add_f32_e32 v26, v29, v47
	v_add_f32_e32 v27, v52, v49
	v_fmac_f32_e32 v28, -0.5, v37
	ds_write2_b64 v53, v[24:25], v[26:27] offset1:60
	v_sub_f32_e32 v24, v43, v45
	v_sub_f32_e32 v25, v42, v46
	v_add_f32_e32 v27, v7, v30
	v_add_f32_e32 v26, v6, v28
	buffer_load_dword v42, off, s[20:23], 0 offset:344 ; 4-byte Folded Reload
	v_sub_f32_e32 v7, v7, v30
	v_sub_f32_e32 v6, v6, v28
	v_add_f32_e32 v28, v2, v40
	ds_write2_b64 v53, v[26:27], v[24:25] offset0:120 offset1:180
	buffer_load_dword v26, off, s[20:23], 0 offset:332 ; 4-byte Folded Reload
	v_sub_f32_e32 v24, v29, v47
	v_sub_f32_e32 v25, v52, v49
	v_add_f32_e32 v29, v40, v58
	v_sub_f32_e32 v27, v39, v50
	v_sub_f32_e32 v30, v40, v58
	v_add_f32_e32 v28, v28, v58
	v_fma_f32 v29, -0.5, v29, v2
	v_fmamk_f32 v40, v27, 0xbf5db3d7, v29
	v_fmac_f32_e32 v29, 0x3f5db3d7, v27
	s_waitcnt vmcnt(0)
	ds_write2_b64 v26, v[24:25], v[6:7] offset0:112 offset1:172
	v_add_f32_e32 v6, v48, v20
	v_add_f32_e32 v7, v36, v48
	;; [unrolled: 1-line block ×4, first 2 shown]
	v_fmac_f32_e32 v36, -0.5, v6
	v_add_f32_e32 v6, v38, v51
	v_add_f32_e32 v31, v7, v20
	v_sub_f32_e32 v20, v48, v20
	v_fma_f32 v26, -0.5, v26, v3
	v_add_f32_e32 v25, v25, v50
	v_add_f32_e32 v24, v6, v23
	;; [unrolled: 1-line block ×3, first 2 shown]
	v_sub_f32_e32 v23, v51, v23
	v_fmamk_f32 v41, v30, 0x3f5db3d7, v26
	v_add_f32_e32 v3, v25, v31
	v_add_f32_e32 v2, v28, v24
	v_fmac_f32_e32 v38, -0.5, v6
	v_fmamk_f32 v6, v23, 0x3f5db3d7, v36
	v_fmac_f32_e32 v36, 0xbf5db3d7, v23
	v_fmac_f32_e32 v26, 0xbf5db3d7, v30
	buffer_load_dword v30, off, s[20:23], 0 offset:336 ; 4-byte Folded Reload
	v_mul_f32_e32 v37, 0xbf5db3d7, v6
	v_mul_f32_e32 v39, 0.5, v6
	v_fmamk_f32 v6, v20, 0xbf5db3d7, v38
	v_fmac_f32_e32 v38, 0x3f5db3d7, v20
	v_mul_f32_e32 v20, 0xbf5db3d7, v36
	v_mul_f32_e32 v23, -0.5, v36
	v_fmac_f32_e32 v37, 0.5, v6
	v_fmac_f32_e32 v39, 0x3f5db3d7, v6
	v_fmac_f32_e32 v20, -0.5, v38
	v_fmac_f32_e32 v23, 0x3f5db3d7, v38
	v_add_f32_e32 v6, v40, v37
	v_add_f32_e32 v7, v41, v39
	ds_write2_b64 v42, v[2:3], v[6:7] offset1:60
	v_sub_f32_e32 v2, v28, v24
	v_sub_f32_e32 v3, v25, v31
	v_add_f32_e32 v6, v29, v20
	v_add_f32_e32 v7, v26, v23
	v_sub_f32_e32 v25, v35, v57
	ds_write2_b64 v42, v[6:7], v[2:3] offset0:120 offset1:180
	v_sub_f32_e32 v6, v29, v20
	buffer_load_dword v20, off, s[20:23], 0 offset:324 ; 4-byte Folded Reload
	v_sub_f32_e32 v2, v40, v37
	v_sub_f32_e32 v3, v41, v39
	;; [unrolled: 1-line block ×3, first 2 shown]
	v_add_f32_e32 v23, v34, v56
	s_waitcnt vmcnt(0)
	ds_write2_b64 v20, v[2:3], v[6:7] offset0:112 offset1:172
	v_add_f32_e32 v2, v35, v57
	v_add_f32_e32 v3, v5, v35
	;; [unrolled: 1-line block ×4, first 2 shown]
	v_sub_f32_e32 v20, v34, v56
	v_fmac_f32_e32 v5, -0.5, v2
	v_add_f32_e32 v2, v21, v16
	v_sub_f32_e32 v21, v21, v16
	v_add_f32_e32 v26, v3, v57
	v_add_f32_e32 v16, v6, v16
	v_fmamk_f32 v29, v20, 0x3f5db3d7, v5
	v_fmac_f32_e32 v32, -0.5, v2
	v_add_f32_e32 v2, v22, v17
	v_sub_f32_e32 v22, v22, v17
	v_add_f32_e32 v17, v7, v17
	v_fmac_f32_e32 v5, 0xbf5db3d7, v20
	buffer_load_dword v20, off, s[20:23], 0 offset:328 ; 4-byte Folded Reload
	v_fmac_f32_e32 v33, -0.5, v2
	v_add_f32_e32 v2, v4, v34
	v_fma_f32 v4, -0.5, v23, v4
	v_add_f32_e32 v3, v26, v17
	v_add_f32_e32 v24, v2, v56
	v_fmamk_f32 v2, v21, 0x3f5db3d7, v33
	v_fmamk_f32 v23, v25, 0xbf5db3d7, v4
	v_fmac_f32_e32 v33, 0xbf5db3d7, v21
	v_fmac_f32_e32 v4, 0x3f5db3d7, v25
	v_mul_f32_e32 v27, 0xbf5db3d7, v2
	v_mul_f32_e32 v28, 0.5, v2
	v_fmamk_f32 v2, v22, 0xbf5db3d7, v32
	v_fmac_f32_e32 v32, 0x3f5db3d7, v22
	v_fmac_f32_e32 v27, 0.5, v2
	v_fmac_f32_e32 v28, 0x3f5db3d7, v2
	v_add_f32_e32 v2, v24, v16
	v_add_f32_e32 v6, v23, v27
	;; [unrolled: 1-line block ×3, first 2 shown]
	ds_write2_b64 v30, v[2:3], v[6:7] offset1:60
	v_sub_f32_e32 v2, v24, v16
	v_sub_f32_e32 v3, v26, v17
	v_mul_f32_e32 v16, -0.5, v33
	v_mul_f32_e32 v17, 0xbf5db3d7, v33
	v_fmac_f32_e32 v16, 0x3f5db3d7, v32
	v_fmac_f32_e32 v17, -0.5, v32
	v_add_f32_e32 v7, v5, v16
	v_add_f32_e32 v6, v4, v17
	ds_write2_b64 v30, v[6:7], v[2:3] offset0:120 offset1:180
	buffer_load_dword v6, off, s[20:23], 0 offset:320 ; 4-byte Folded Reload
	v_sub_f32_e32 v3, v5, v16
	v_sub_f32_e32 v2, v4, v17
	;; [unrolled: 1-line block ×4, first 2 shown]
	v_add_f32_e32 v7, v18, v10
	v_sub_f32_e32 v16, v19, v11
	s_waitcnt vmcnt(0)
	ds_write2_b64 v6, v[4:5], v[2:3] offset0:112 offset1:172
	v_add_f32_e32 v2, v19, v11
	v_add_f32_e32 v3, v1, v19
	;; [unrolled: 1-line block ×4, first 2 shown]
	v_sub_f32_e32 v6, v18, v10
	v_fmac_f32_e32 v1, -0.5, v2
	v_add_f32_e32 v2, v12, v8
	v_sub_f32_e32 v12, v12, v8
	v_add_f32_e32 v11, v3, v11
	v_add_f32_e32 v8, v4, v8
	v_fmamk_f32 v19, v6, 0x3f5db3d7, v1
	v_fmac_f32_e32 v14, -0.5, v2
	v_add_f32_e32 v2, v13, v9
	v_sub_f32_e32 v13, v13, v9
	v_add_f32_e32 v9, v5, v9
	v_fmac_f32_e32 v1, 0xbf5db3d7, v6
	v_fmac_f32_e32 v15, -0.5, v2
	v_add_f32_e32 v2, v0, v18
	v_fma_f32 v0, -0.5, v7, v0
	v_add_f32_e32 v3, v11, v9
	v_add_f32_e32 v10, v2, v10
	v_fmamk_f32 v2, v12, 0x3f5db3d7, v15
	v_fmamk_f32 v7, v16, 0xbf5db3d7, v0
	v_fmac_f32_e32 v15, 0xbf5db3d7, v12
	v_fmac_f32_e32 v0, 0x3f5db3d7, v16
	v_mul_f32_e32 v17, 0xbf5db3d7, v2
	v_mul_f32_e32 v18, 0.5, v2
	v_fmamk_f32 v2, v13, 0xbf5db3d7, v14
	v_fmac_f32_e32 v14, 0x3f5db3d7, v13
	v_mul_f32_e32 v6, -0.5, v15
	v_fmac_f32_e32 v17, 0.5, v2
	v_fmac_f32_e32 v18, 0x3f5db3d7, v2
	v_add_f32_e32 v2, v10, v8
	v_fmac_f32_e32 v6, 0x3f5db3d7, v14
	v_add_f32_e32 v4, v7, v17
	v_add_f32_e32 v5, v19, v18
	ds_write2_b64 v20, v[2:3], v[4:5] offset1:60
	v_sub_f32_e32 v2, v10, v8
	v_mul_f32_e32 v8, 0xbf5db3d7, v15
	v_sub_f32_e32 v3, v11, v9
	v_add_f32_e32 v5, v1, v6
	v_sub_f32_e32 v1, v1, v6
	v_fmac_f32_e32 v8, -0.5, v14
	v_add_f32_e32 v4, v0, v8
	v_sub_f32_e32 v0, v0, v8
	ds_write2_b64 v20, v[4:5], v[2:3] offset0:120 offset1:180
	buffer_load_dword v4, off, s[20:23], 0 offset:316 ; 4-byte Folded Reload
	v_sub_f32_e32 v2, v7, v17
	v_sub_f32_e32 v3, v19, v18
	s_waitcnt vmcnt(0)
	ds_write2_b64 v4, v[2:3], v[0:1] offset0:112 offset1:172
	s_waitcnt lgkmcnt(0)
	s_barrier
	buffer_gl0_inv
	ds_read2_b64 v[0:3], v223 offset1:96
	s_waitcnt lgkmcnt(0)
	v_mul_f32_e32 v6, v179, v1
	v_mul_f32_e32 v34, v177, v3
	v_fmac_f32_e32 v6, v178, v0
	v_mul_f32_e32 v0, v179, v0
	v_fmac_f32_e32 v34, v176, v2
	v_fma_f32 v7, v178, v1, -v0
	v_mul_f32_e32 v0, v177, v2
	v_fma_f32 v35, v176, v3, -v0
	ds_read2_b64 v[0:3], v113 offset0:64 offset1:160
	s_waitcnt lgkmcnt(0)
	v_mul_f32_e32 v36, v236, v1
	v_mul_f32_e32 v38, v187, v3
	v_fmac_f32_e32 v36, v235, v0
	v_mul_f32_e32 v0, v236, v0
	v_fmac_f32_e32 v38, v186, v2
	v_fma_f32 v37, v235, v1, -v0
	v_mul_f32_e32 v0, v187, v2
	v_fma_f32 v39, v186, v3, -v0
	ds_read2_b64 v[0:3], v162 offset0:128 offset1:224
	;; [unrolled: 10-line block ×3, first 2 shown]
	s_waitcnt lgkmcnt(0)
	v_mul_f32_e32 v44, v209, v1
	v_mul_f32_e32 v46, v173, v3
	v_fmac_f32_e32 v44, v208, v0
	v_mul_f32_e32 v0, v209, v0
	v_fmac_f32_e32 v46, v172, v2
	v_fma_f32 v45, v208, v1, -v0
	v_mul_f32_e32 v0, v173, v2
	v_fma_f32 v47, v172, v3, -v0
	ds_read2_b64 v[0:3], v112 offset1:96
	s_waitcnt lgkmcnt(0)
	v_mul_f32_e32 v48, v175, v1
	v_mul_f32_e32 v50, v183, v3
	v_fmac_f32_e32 v48, v174, v0
	v_mul_f32_e32 v0, v175, v0
	v_fmac_f32_e32 v50, v182, v2
	v_fma_f32 v49, v174, v1, -v0
	v_mul_f32_e32 v0, v183, v2
	v_fma_f32 v51, v182, v3, -v0
	ds_read2_b64 v[0:3], v210 offset0:64 offset1:160
	s_waitcnt lgkmcnt(0)
	v_mul_f32_e32 v52, v181, v1
	v_mul_f32_e32 v54, v158, v3
	v_fmac_f32_e32 v52, v180, v0
	v_mul_f32_e32 v0, v181, v0
	v_fmac_f32_e32 v54, v157, v2
	v_fma_f32 v53, v180, v1, -v0
	v_mul_f32_e32 v0, v158, v2
	v_fma_f32 v55, v157, v3, -v0
	ds_read2_b64 v[0:3], v226 offset0:128 offset1:224
	;; [unrolled: 10-line block ×3, first 2 shown]
	s_waitcnt lgkmcnt(0)
	v_mul_f32_e32 v8, v246, v3
	v_fmac_f32_e32 v8, v245, v2
	v_mul_f32_e32 v2, v246, v2
	v_fma_f32 v9, v245, v3, -v2
	ds_read2_b64 v[2:5], v140 offset1:96
	s_waitcnt lgkmcnt(0)
	v_sub_f32_e32 v26, v2, v8
	v_sub_f32_e32 v27, v3, v9
	;; [unrolled: 1-line block ×4, first 2 shown]
	v_fma_f32 v30, v2, 2.0, -v26
	v_fma_f32 v31, v3, 2.0, -v27
	;; [unrolled: 1-line block ×4, first 2 shown]
	ds_read2_b64 v[2:5], v205 offset0:64 offset1:160
	ds_read2_b64 v[6:9], v196 offset0:128 offset1:224
	;; [unrolled: 1-line block ×3, first 2 shown]
	ds_read2_b64 v[14:17], v255 offset1:96
	ds_read2_b64 v[18:21], v155 offset0:64 offset1:160
	ds_read2_b64 v[22:25], v110 offset0:128 offset1:224
	s_waitcnt lgkmcnt(0)
	s_barrier
	buffer_gl0_inv
	ds_write_b64 v140, v[26:27] offset:2880
	ds_write2_b64 v140, v[30:31], v[32:33] offset1:96
	buffer_load_dword v30, off, s[20:23], 0 offset:472 ; 4-byte Folded Reload
	v_sub_f32_e32 v26, v2, v34
	v_sub_f32_e32 v27, v3, v35
	;; [unrolled: 1-line block ×3, first 2 shown]
	v_fma_f32 v2, v2, 2.0, -v26
	v_fma_f32 v3, v3, 2.0, -v27
	v_sub_f32_e32 v32, v20, v52
	v_sub_f32_e32 v33, v21, v53
	v_fma_f32 v19, v19, 2.0, -v31
	v_sub_f32_e32 v34, v22, v54
	ds_write_b64 v140, v[2:3] offset:1536
	v_add_nc_u32_e32 v2, 0xc00, v140
	v_sub_f32_e32 v3, v5, v37
	v_fma_f32 v20, v20, 2.0, -v32
	v_fma_f32 v21, v21, 2.0, -v33
	v_sub_f32_e32 v35, v23, v55
	ds_write2_b64 v2, v[28:29], v[26:27] offset0:72 offset1:168
	v_sub_f32_e32 v2, v4, v36
	v_fma_f32 v5, v5, 2.0, -v3
	v_sub_f32_e32 v26, v6, v38
	v_sub_f32_e32 v27, v7, v39
	;; [unrolled: 1-line block ×3, first 2 shown]
	v_fma_f32 v4, v4, 2.0, -v2
	v_sub_f32_e32 v29, v9, v41
	v_fma_f32 v6, v6, 2.0, -v26
	v_fma_f32 v7, v7, 2.0, -v27
	;; [unrolled: 1-line block ×3, first 2 shown]
	s_waitcnt vmcnt(0)
	ds_write_b64 v30, v[4:5]
	ds_write_b64 v30, v[2:3] offset:2880
	v_fma_f32 v9, v9, 2.0, -v29
	v_add_nc_u32_e32 v2, 0x1400, v140
	v_sub_f32_e32 v3, v11, v43
	v_sub_f32_e32 v4, v12, v44
	;; [unrolled: 1-line block ×4, first 2 shown]
	ds_write2_b64 v2, v[6:7], v[8:9] offset0:104 offset1:200
	v_sub_f32_e32 v2, v10, v42
	v_fma_f32 v7, v11, 2.0, -v3
	v_fma_f32 v8, v12, 2.0, -v4
	;; [unrolled: 1-line block ×3, first 2 shown]
	v_sub_f32_e32 v11, v15, v47
	v_fma_f32 v6, v10, 2.0, -v2
	ds_write2_b64 v60, v[28:29], v[2:3] offset0:48 offset1:144
	buffer_load_dword v2, off, s[20:23], 0 offset:460 ; 4-byte Folded Reload
	v_sub_f32_e32 v10, v14, v46
	v_fma_f32 v15, v15, 2.0, -v11
	ds_write2_b64 v155, v[6:7], v[26:27] offset0:40 offset1:208
	s_waitcnt vmcnt(0)
	ds_write_b64 v2, v[8:9]
	ds_write_b64 v2, v[4:5] offset:2880
	buffer_load_dword v2, off, s[20:23], 0 offset:448 ; 4-byte Folded Reload
	v_fma_f32 v14, v14, 2.0, -v10
	s_waitcnt vmcnt(0)
	ds_write_b64 v2, v[14:15] offset:11520
	ds_write_b64 v2, v[10:11] offset:14400
	buffer_load_dword v2, off, s[20:23], 0 offset:444 ; 4-byte Folded Reload
	v_sub_f32_e32 v12, v16, v48
	v_sub_f32_e32 v13, v17, v49
	v_fma_f32 v18, v18, 2.0, -v30
	v_fma_f32 v22, v22, 2.0, -v34
	;; [unrolled: 1-line block ×5, first 2 shown]
	s_waitcnt vmcnt(0)
	ds_write_b64 v2, v[16:17] offset:11520
	ds_write_b64 v2, v[12:13] offset:14400
	buffer_load_dword v2, off, s[20:23], 0 offset:440 ; 4-byte Folded Reload
	s_waitcnt vmcnt(0)
	ds_write_b64 v2, v[18:19] offset:11520
	ds_write_b64 v2, v[30:31] offset:14400
	buffer_load_dword v2, off, s[20:23], 0 offset:436 ; 4-byte Folded Reload
	s_waitcnt vmcnt(0)
	ds_write_b64 v2, v[20:21]
	ds_write_b64 v2, v[32:33] offset:2880
	buffer_load_dword v2, off, s[20:23], 0 offset:432 ; 4-byte Folded Reload
	s_waitcnt vmcnt(0)
	ds_write_b64 v2, v[22:23] offset:17280
	ds_write_b64 v2, v[34:35] offset:20160
	buffer_load_dword v2, off, s[20:23], 0 offset:428 ; 4-byte Folded Reload
	v_sub_f32_e32 v36, v24, v56
	v_sub_f32_e32 v37, v25, v57
	v_sub_f32_e32 v38, v0, v58
	v_sub_f32_e32 v39, v1, v59
	v_fma_f32 v24, v24, 2.0, -v36
	v_fma_f32 v25, v25, 2.0, -v37
	s_waitcnt vmcnt(0)
	ds_write_b64 v2, v[24:25] offset:17280
	ds_write_b64 v2, v[36:37] offset:20160
	buffer_load_dword v2, off, s[20:23], 0 offset:424 ; 4-byte Folded Reload
	v_fma_f32 v0, v0, 2.0, -v38
	v_fma_f32 v1, v1, 2.0, -v39
	s_waitcnt vmcnt(0)
	ds_write_b64 v2, v[0:1] offset:17280
	ds_write_b64 v2, v[38:39] offset:20160
	s_waitcnt lgkmcnt(0)
	s_barrier
	buffer_gl0_inv
	ds_read2_b64 v[0:3], v223 offset1:96
	s_clause 0x1
	buffer_load_dword v4, off, s[20:23], 0 offset:544
	buffer_load_dword v5, off, s[20:23], 0 offset:548
	s_waitcnt vmcnt(0) lgkmcnt(0)
	v_mul_f32_e32 v6, v5, v1
	v_fmac_f32_e32 v6, v4, v0
	v_mul_f32_e32 v0, v5, v0
	v_fma_f32 v7, v4, v1, -v0
	s_clause 0x1
	buffer_load_dword v4, off, s[20:23], 0 offset:552
	buffer_load_dword v5, off, s[20:23], 0 offset:556
	s_waitcnt vmcnt(0)
	v_mul_f32_e32 v8, v5, v3
	v_mul_f32_e32 v0, v5, v2
	v_fmac_f32_e32 v8, v4, v2
	v_fma_f32 v9, v4, v3, -v0
	ds_read2_b64 v[0:3], v113 offset0:64 offset1:160
	s_clause 0x1
	buffer_load_dword v4, off, s[20:23], 0 offset:536
	buffer_load_dword v5, off, s[20:23], 0 offset:540
	s_waitcnt lgkmcnt(0)
	v_mul_f32_e32 v12, v238, v3
	v_fmac_f32_e32 v12, v237, v2
	s_waitcnt vmcnt(0)
	v_mul_f32_e32 v10, v5, v1
	v_fmac_f32_e32 v10, v4, v0
	v_mul_f32_e32 v0, v5, v0
	v_fma_f32 v11, v4, v1, -v0
	v_mul_f32_e32 v0, v238, v2
	v_fma_f32 v13, v237, v3, -v0
	ds_read2_b64 v[0:3], v162 offset0:128 offset1:224
	s_waitcnt lgkmcnt(0)
	v_mul_f32_e32 v14, v240, v1
	v_mul_f32_e32 v42, v242, v3
	v_fmac_f32_e32 v14, v239, v0
	v_mul_f32_e32 v0, v240, v0
	v_fmac_f32_e32 v42, v241, v2
	v_fma_f32 v15, v239, v1, -v0
	v_mul_f32_e32 v0, v242, v2
	v_fma_f32 v43, v241, v3, -v0
	ds_read2_b64 v[0:3], v114 offset0:64 offset1:160
	s_clause 0x1
	buffer_load_dword v4, off, s[20:23], 0 offset:416
	buffer_load_dword v5, off, s[20:23], 0 offset:420
	s_waitcnt lgkmcnt(0)
	v_mul_f32_e32 v44, v244, v1
	v_fmac_f32_e32 v44, v243, v0
	v_mul_f32_e32 v0, v244, v0
	v_fma_f32 v45, v243, v1, -v0
	s_waitcnt vmcnt(0)
	v_mul_f32_e32 v46, v5, v3
	v_mul_f32_e32 v0, v5, v2
	v_fmac_f32_e32 v46, v4, v2
	v_fma_f32 v47, v4, v3, -v0
	ds_read2_b64 v[0:3], v112 offset1:96
	s_clause 0x1
	buffer_load_dword v4, off, s[20:23], 0 offset:408
	buffer_load_dword v5, off, s[20:23], 0 offset:412
	s_waitcnt vmcnt(0) lgkmcnt(0)
	v_mul_f32_e32 v48, v5, v1
	v_fmac_f32_e32 v48, v4, v0
	v_mul_f32_e32 v0, v5, v0
	v_fma_f32 v49, v4, v1, -v0
	s_clause 0x1
	buffer_load_dword v4, off, s[20:23], 0 offset:400
	buffer_load_dword v5, off, s[20:23], 0 offset:404
	s_waitcnt vmcnt(0)
	v_mul_f32_e32 v50, v5, v3
	v_mul_f32_e32 v0, v5, v2
	v_fmac_f32_e32 v50, v4, v2
	v_fma_f32 v51, v4, v3, -v0
	ds_read2_b64 v[0:3], v210 offset0:64 offset1:160
	s_clause 0x1
	buffer_load_dword v4, off, s[20:23], 0 offset:392
	buffer_load_dword v5, off, s[20:23], 0 offset:396
	s_waitcnt vmcnt(0) lgkmcnt(0)
	v_mul_f32_e32 v52, v5, v1
	v_fmac_f32_e32 v52, v4, v0
	v_mul_f32_e32 v0, v5, v0
	v_fma_f32 v53, v4, v1, -v0
	s_clause 0x1
	buffer_load_dword v4, off, s[20:23], 0 offset:384
	buffer_load_dword v5, off, s[20:23], 0 offset:388
	s_waitcnt vmcnt(0)
	v_mul_f32_e32 v54, v5, v3
	v_mul_f32_e32 v0, v5, v2
	v_fmac_f32_e32 v54, v4, v2
	v_fma_f32 v55, v4, v3, -v0
	ds_read2_b64 v[0:3], v226 offset0:128 offset1:224
	;; [unrolled: 17-line block ×3, first 2 shown]
	s_clause 0x1
	buffer_load_dword v4, off, s[20:23], 0 offset:360
	buffer_load_dword v5, off, s[20:23], 0 offset:364
	s_waitcnt vmcnt(0) lgkmcnt(0)
	v_mul_f32_e32 v16, v5, v3
	v_fmac_f32_e32 v16, v4, v2
	v_mul_f32_e32 v2, v5, v2
	v_fma_f32 v17, v4, v3, -v2
	ds_read2_b64 v[2:5], v140 offset1:96
	s_waitcnt lgkmcnt(0)
	v_sub_f32_e32 v18, v2, v16
	v_sub_f32_e32 v19, v3, v17
	v_sub_f32_e32 v20, v4, v6
	v_sub_f32_e32 v21, v5, v7
	v_fma_f32 v22, v2, 2.0, -v18
	v_fma_f32 v23, v3, 2.0, -v19
	v_fma_f32 v24, v4, 2.0, -v20
	v_fma_f32 v25, v5, 2.0, -v21
	ds_read2_b64 v[2:5], v205 offset0:64 offset1:160
	s_waitcnt lgkmcnt(0)
	v_sub_f32_e32 v26, v2, v8
	v_sub_f32_e32 v27, v3, v9
	v_sub_f32_e32 v28, v4, v10
	v_sub_f32_e32 v29, v5, v11
	v_fma_f32 v30, v2, 2.0, -v26
	v_fma_f32 v31, v3, 2.0, -v27
	v_fma_f32 v32, v4, 2.0, -v28
	v_fma_f32 v33, v5, 2.0, -v29
	ds_read2_b64 v[2:5], v196 offset0:128 offset1:224
	;; [unrolled: 10-line block ×3, first 2 shown]
	ds_read2_b64 v[6:9], v255 offset1:96
	ds_read2_b64 v[10:13], v155 offset0:64 offset1:160
	ds_read2_b64 v[14:17], v110 offset0:128 offset1:224
	s_waitcnt lgkmcnt(0)
	s_barrier
	buffer_gl0_inv
	ds_write_b64 v140, v[18:19] offset:5760
	ds_write2_b64 v140, v[22:23], v[24:25] offset1:96
	ds_write2_b64 v255, v[20:21], v[26:27] offset0:48 offset1:144
	ds_write2_b64 v205, v[30:31], v[32:33] offset0:64 offset1:160
	;; [unrolled: 1-line block ×4, first 2 shown]
	v_sub_f32_e32 v23, v1, v59
	v_fma_f32 v1, v1, 2.0, -v23
	v_sub_f32_e32 v18, v2, v42
	v_sub_f32_e32 v19, v3, v43
	;; [unrolled: 1-line block ×4, first 2 shown]
	v_fma_f32 v2, v2, 2.0, -v18
	v_fma_f32 v3, v3, 2.0, -v19
	ds_write_b64 v140, v[2:3] offset:4608
	ds_write2_b64 v60, v[36:37], v[18:19] offset0:48 offset1:144
	buffer_load_dword v22, off, s[20:23], 0 offset:356 ; 4-byte Folded Reload
	v_sub_f32_e32 v2, v4, v44
	v_sub_f32_e32 v3, v5, v45
	;; [unrolled: 1-line block ×4, first 2 shown]
	v_fma_f32 v8, v8, 2.0, -v20
	v_fma_f32 v4, v4, 2.0, -v2
	;; [unrolled: 1-line block ×6, first 2 shown]
	s_waitcnt vmcnt(0)
	ds_write_b64 v22, v[4:5]
	ds_write_b64 v22, v[2:3] offset:5760
	v_add_nc_u32_e32 v2, 0x2c00, v140
	v_sub_f32_e32 v3, v11, v51
	v_sub_f32_e32 v4, v12, v52
	;; [unrolled: 1-line block ×4, first 2 shown]
	ds_write2_b64 v2, v[6:7], v[8:9] offset0:80 offset1:176
	v_sub_f32_e32 v2, v10, v50
	v_fma_f32 v7, v11, 2.0, -v3
	v_fma_f32 v8, v12, 2.0, -v4
	;; [unrolled: 1-line block ×3, first 2 shown]
	v_sub_f32_e32 v11, v15, v55
	v_fma_f32 v6, v10, 2.0, -v2
	v_sub_f32_e32 v10, v14, v54
	v_sub_f32_e32 v12, v16, v56
	;; [unrolled: 1-line block ×3, first 2 shown]
	v_fma_f32 v15, v15, 2.0, -v11
	v_fma_f32 v0, v0, 2.0, -v22
	;; [unrolled: 1-line block ×5, first 2 shown]
	ds_write2_b64 v112, v[20:21], v[2:3] offset1:96
	ds_write2_b64 v223, v[6:7], v[8:9] offset0:144 offset1:240
	ds_write2_b64 v210, v[4:5], v[10:11] offset0:64 offset1:160
	;; [unrolled: 1-line block ×5, first 2 shown]
	s_waitcnt lgkmcnt(0)
	s_barrier
	buffer_gl0_inv
	ds_read2_b64 v[0:3], v223 offset1:96
	s_clause 0x3
	buffer_load_dword v9, off, s[20:23], 0 offset:492
	buffer_load_dword v10, off, s[20:23], 0 offset:496
	;; [unrolled: 1-line block ×4, first 2 shown]
	s_waitcnt vmcnt(2) lgkmcnt(0)
	v_mul_f32_e32 v8, v10, v1
	v_mul_f32_e32 v4, v10, v0
	s_waitcnt vmcnt(0)
	v_mul_f32_e32 v14, v7, v3
	v_mul_f32_e32 v5, v7, v2
	v_fmac_f32_e32 v8, v9, v0
	v_fma_f32 v9, v9, v1, -v4
	v_fmac_f32_e32 v14, v6, v2
	v_fma_f32 v15, v6, v3, -v5
	ds_read2_b64 v[0:3], v113 offset0:64 offset1:160
	s_clause 0x1
	buffer_load_dword v6, off, s[20:23], 0 offset:476
	buffer_load_dword v7, off, s[20:23], 0 offset:480
	s_waitcnt lgkmcnt(0)
	v_mul_f32_e32 v22, v185, v3
	v_mul_f32_e32 v5, v185, v2
	v_fmac_f32_e32 v22, v184, v2
	v_fma_f32 v23, v184, v3, -v5
	s_waitcnt vmcnt(0)
	v_mul_f32_e32 v16, v7, v1
	v_mul_f32_e32 v4, v7, v0
	v_fmac_f32_e32 v16, v6, v0
	v_fma_f32 v17, v6, v1, -v4
	ds_read2_b64 v[0:3], v162 offset0:128 offset1:224
	s_waitcnt lgkmcnt(0)
	v_mul_f32_e32 v24, v191, v1
	v_mul_f32_e32 v4, v191, v0
	;; [unrolled: 1-line block ×4, first 2 shown]
	v_fmac_f32_e32 v24, v190, v0
	v_fma_f32 v25, v190, v1, -v4
	v_fmac_f32_e32 v30, v211, v2
	v_fma_f32 v31, v211, v3, -v5
	ds_read2_b64 v[0:3], v114 offset0:64 offset1:160
	s_waitcnt lgkmcnt(0)
	v_mul_f32_e32 v32, v228, v1
	v_mul_f32_e32 v4, v228, v0
	;; [unrolled: 1-line block ×4, first 2 shown]
	v_fmac_f32_e32 v32, v227, v0
	v_fma_f32 v33, v227, v1, -v4
	v_fmac_f32_e32 v38, v166, v2
	v_fma_f32 v39, v166, v3, -v5
	ds_read2_b64 v[0:3], v112 offset1:96
	s_waitcnt lgkmcnt(0)
	v_mul_f32_e32 v40, v234, v1
	v_mul_f32_e32 v4, v234, v0
	v_mul_f32_e32 v46, v230, v3
	v_mul_f32_e32 v5, v230, v2
	v_fmac_f32_e32 v40, v233, v0
	v_fma_f32 v41, v233, v1, -v4
	v_fmac_f32_e32 v46, v229, v2
	v_fma_f32 v47, v229, v3, -v5
	ds_read2_b64 v[0:3], v210 offset0:64 offset1:160
	s_waitcnt lgkmcnt(0)
	v_mul_f32_e32 v48, v252, v1
	v_mul_f32_e32 v4, v252, v0
	v_mul_f32_e32 v54, v254, v3
	v_mul_f32_e32 v5, v254, v2
	v_fmac_f32_e32 v48, v251, v0
	v_fma_f32 v49, v251, v1, -v4
	v_fmac_f32_e32 v54, v253, v2
	v_fma_f32 v55, v253, v3, -v5
	ds_read2_b64 v[0:3], v226 offset0:128 offset1:224
	;; [unrolled: 10-line block ×3, first 2 shown]
	s_clause 0x1
	buffer_load_dword v10, off, s[20:23], 0 offset:452
	buffer_load_dword v11, off, s[20:23], 0 offset:456
	s_waitcnt lgkmcnt(0)
	v_sub_f32_e32 v58, v0, v58
	v_sub_f32_e32 v59, v1, v59
	v_fma_f32 v0, v0, 2.0, -v58
	v_fma_f32 v1, v1, 2.0, -v59
	s_waitcnt vmcnt(0)
	v_mul_f32_e32 v6, v11, v3
	v_mul_f32_e32 v4, v11, v2
	v_fmac_f32_e32 v6, v10, v2
	v_fma_f32 v7, v10, v3, -v4
	ds_read2_b64 v[2:5], v140 offset1:96
	s_waitcnt lgkmcnt(0)
	v_sub_f32_e32 v6, v2, v6
	v_sub_f32_e32 v7, v3, v7
	v_sub_f32_e32 v8, v4, v8
	v_sub_f32_e32 v9, v5, v9
	v_fma_f32 v10, v2, 2.0, -v6
	v_fma_f32 v11, v3, 2.0, -v7
	v_fma_f32 v12, v4, 2.0, -v8
	v_fma_f32 v13, v5, 2.0, -v9
	ds_read2_b64 v[2:5], v205 offset0:64 offset1:160
	s_waitcnt lgkmcnt(0)
	v_sub_f32_e32 v14, v2, v14
	v_sub_f32_e32 v15, v3, v15
	v_sub_f32_e32 v16, v4, v16
	v_sub_f32_e32 v17, v5, v17
	v_fma_f32 v18, v2, 2.0, -v14
	v_fma_f32 v19, v3, 2.0, -v15
	v_fma_f32 v20, v4, 2.0, -v16
	v_fma_f32 v21, v5, 2.0, -v17
	ds_read2_b64 v[2:5], v196 offset0:128 offset1:224
	;; [unrolled: 10-line block ×3, first 2 shown]
	s_waitcnt lgkmcnt(0)
	v_sub_f32_e32 v30, v2, v30
	v_sub_f32_e32 v31, v3, v31
	;; [unrolled: 1-line block ×4, first 2 shown]
	v_fma_f32 v34, v2, 2.0, -v30
	v_fma_f32 v35, v3, 2.0, -v31
	;; [unrolled: 1-line block ×4, first 2 shown]
	ds_read2_b64 v[2:5], v255 offset1:96
	s_waitcnt lgkmcnt(0)
	v_sub_f32_e32 v38, v2, v38
	v_sub_f32_e32 v39, v3, v39
	;; [unrolled: 1-line block ×4, first 2 shown]
	v_fma_f32 v42, v2, 2.0, -v38
	v_fma_f32 v43, v3, 2.0, -v39
	;; [unrolled: 1-line block ×4, first 2 shown]
	ds_read2_b64 v[2:5], v155 offset0:64 offset1:160
	s_waitcnt lgkmcnt(0)
	v_sub_f32_e32 v46, v2, v46
	v_sub_f32_e32 v47, v3, v47
	;; [unrolled: 1-line block ×4, first 2 shown]
	v_fma_f32 v50, v2, 2.0, -v46
	v_fma_f32 v51, v3, 2.0, -v47
	;; [unrolled: 1-line block ×4, first 2 shown]
	ds_read2_b64 v[2:5], v110 offset0:128 offset1:224
	s_waitcnt lgkmcnt(0)
	v_sub_f32_e32 v54, v2, v54
	v_sub_f32_e32 v55, v3, v55
	;; [unrolled: 1-line block ×4, first 2 shown]
	v_fma_f32 v2, v2, 2.0, -v54
	v_fma_f32 v3, v3, 2.0, -v55
	;; [unrolled: 1-line block ×4, first 2 shown]
	ds_write_b64 v140, v[6:7] offset:11520
	ds_write2_b64 v140, v[10:11], v[12:13] offset1:96
	ds_write2_b64 v223, v[8:9], v[14:15] offset1:96
	ds_write2_b64 v205, v[18:19], v[20:21] offset0:64 offset1:160
	ds_write2_b64 v113, v[16:17], v[22:23] offset0:64 offset1:160
	;; [unrolled: 1-line block ×6, first 2 shown]
	ds_write2_b64 v255, v[42:43], v[44:45] offset1:96
	ds_write2_b64 v112, v[40:41], v[46:47] offset1:96
	ds_write2_b64 v155, v[50:51], v[52:53] offset0:64 offset1:160
	ds_write2_b64 v210, v[48:49], v[54:55] offset0:64 offset1:160
	;; [unrolled: 1-line block ×4, first 2 shown]
	ds_write_b64 v140, v[0:1] offset:10752
	s_waitcnt lgkmcnt(0)
	s_barrier
	buffer_gl0_inv
	ds_read2_b64 v[0:3], v140 offset1:96
	ds_read2_b64 v[7:10], v109 offset0:64 offset1:160
	ds_read2_b64 v[11:14], v110 offset0:128 offset1:224
	s_clause 0x3
	buffer_load_dword v4, off, s[20:23], 0 offset:240
	buffer_load_dword v5, off, s[20:23], 0 offset:244
	;; [unrolled: 1-line block ×4, first 2 shown]
	ds_read2_b64 v[15:18], v113 offset0:64 offset1:160
	s_waitcnt vmcnt(2) lgkmcnt(3)
	v_mul_f32_e32 v27, v5, v1
	v_mul_f32_e32 v5, v5, v0
	v_mov_b32_e32 v6, v4
	s_waitcnt vmcnt(0)
	v_mul_f32_e32 v4, v20, v3
	v_fmac_f32_e32 v27, v6, v0
	v_fma_f32 v28, v6, v1, -v5
	v_mov_b32_e32 v5, v19
	v_mov_b32_e32 v6, v20
	v_fmac_f32_e32 v4, v5, v2
	v_mul_f32_e32 v0, v6, v2
	v_mov_b32_e32 v24, v5
	s_clause 0x3
	buffer_load_dword v5, off, s[20:23], 0 offset:224
	buffer_load_dword v6, off, s[20:23], 0 offset:228
	;; [unrolled: 1-line block ×4, first 2 shown]
	s_waitcnt vmcnt(2) lgkmcnt(2)
	v_mul_f32_e32 v29, v6, v8
	v_mul_f32_e32 v1, v6, v7
	v_mov_b32_e32 v23, v5
	s_waitcnt vmcnt(0)
	v_mul_f32_e32 v2, v20, v10
	v_mul_f32_e32 v5, v20, v9
	v_mov_b32_e32 v25, v19
	ds_read2_b64 v[19:22], v112 offset1:96
	v_fmac_f32_e32 v29, v23, v7
	v_fma_f32 v30, v23, v8, -v1
	s_clause 0x1
	buffer_load_dword v7, off, s[20:23], 0 offset:208
	buffer_load_dword v8, off, s[20:23], 0 offset:212
	v_fma_f32 v6, v24, v3, -v0
	v_fmac_f32_e32 v2, v25, v9
	v_fma_f32 v5, v25, v10, -v5
	s_waitcnt vmcnt(0) lgkmcnt(2)
	v_mul_f32_e32 v31, v8, v12
	v_mul_f32_e32 v0, v8, v11
	s_clause 0x1
	buffer_load_dword v8, off, s[20:23], 0 offset:232
	buffer_load_dword v9, off, s[20:23], 0 offset:236
	ds_read2_b64 v[23:26], v205 offset0:64 offset1:160
	v_fmac_f32_e32 v31, v7, v11
	v_fma_f32 v32, v7, v12, -v0
	s_waitcnt vmcnt(0)
	v_mul_f32_e32 v3, v9, v14
	v_mul_f32_e32 v1, v9, v13
	s_clause 0x1
	buffer_load_dword v9, off, s[20:23], 0 offset:192
	buffer_load_dword v10, off, s[20:23], 0 offset:196
	v_fmac_f32_e32 v3, v8, v13
	v_fma_f32 v8, v8, v14, -v1
	s_waitcnt vmcnt(0) lgkmcnt(2)
	v_mul_f32_e32 v44, v10, v16
	v_mul_f32_e32 v0, v10, v15
	v_fmac_f32_e32 v44, v9, v15
	v_mov_b32_e32 v15, v9
	s_clause 0x3
	buffer_load_dword v9, off, s[20:23], 0 offset:216
	buffer_load_dword v10, off, s[20:23], 0 offset:220
	;; [unrolled: 1-line block ×4, first 2 shown]
	v_fma_f32 v45, v15, v16, -v0
	s_waitcnt vmcnt(2)
	v_mul_f32_e32 v7, v10, v18
	v_mul_f32_e32 v1, v10, v17
	v_mov_b32_e32 v33, v9
	s_waitcnt vmcnt(0) lgkmcnt(1)
	v_mul_f32_e32 v48, v14, v20
	ds_read2_b64 v[9:12], v196 offset0:128 offset1:224
	v_mul_f32_e32 v0, v14, v19
	v_fmac_f32_e32 v7, v33, v17
	v_fma_f32 v54, v33, v18, -v1
	v_fmac_f32_e32 v48, v13, v19
	v_mov_b32_e32 v17, v13
	s_clause 0x3
	buffer_load_dword v13, off, s[20:23], 0 offset:200
	buffer_load_dword v14, off, s[20:23], 0 offset:204
	;; [unrolled: 1-line block ×4, first 2 shown]
	v_cvt_f64_f32_e32 v[48:49], v48
	v_fma_f32 v50, v17, v20, -v0
	v_cvt_f64_f32_e32 v[50:51], v50
	s_waitcnt vmcnt(2)
	v_mul_f32_e32 v55, v14, v22
	v_mul_f32_e32 v1, v14, v21
	v_mov_b32_e32 v18, v13
	s_waitcnt vmcnt(0) lgkmcnt(1)
	v_mul_f32_e32 v19, v34, v26
	v_mul_f32_e32 v17, v34, v25
	ds_read2_b64 v[13:16], v255 offset1:96
	v_fmac_f32_e32 v55, v18, v21
	v_fma_f32 v56, v18, v22, -v1
	v_fmac_f32_e32 v19, v33, v25
	v_cvt_f64_f32_e32 v[0:1], v27
	v_fma_f32 v21, v33, v26, -v17
	s_clause 0x1
	buffer_load_dword v33, off, s[20:23], 0 offset:168
	buffer_load_dword v34, off, s[20:23], 0 offset:172
	v_cvt_f64_f32_e32 v[17:18], v28
	s_clause 0x3
	buffer_load_dword v27, off, s[20:23], 0 offset:160
	buffer_load_dword v28, off, s[20:23], 0 offset:164
	;; [unrolled: 1-line block ×4, first 2 shown]
	v_mul_f64 v[0:1], v[0:1], s[6:7]
	v_mul_f64 v[17:18], v[17:18], s[6:7]
	s_waitcnt vmcnt(4)
	v_mul_f32_e32 v57, v34, v24
	v_mul_f32_e32 v20, v34, v23
	s_waitcnt vmcnt(2) lgkmcnt(1)
	v_mul_f32_e32 v58, v28, v10
	v_mul_f32_e32 v22, v28, v9
	s_waitcnt vmcnt(0)
	v_mul_f32_e32 v59, v26, v12
	v_fmac_f32_e32 v57, v33, v23
	v_fma_f32 v60, v33, v24, -v20
	v_fmac_f32_e32 v58, v27, v9
	v_fma_f32 v61, v27, v10, -v22
	s_clause 0x4
	buffer_load_dword v9, off, s[20:23], 0 offset:144
	buffer_load_dword v10, off, s[20:23], 0 offset:148
	;; [unrolled: 1-line block ×5, first 2 shown]
	v_fmac_f32_e32 v59, v25, v11
	v_mul_f32_e32 v11, v26, v11
	v_mov_b32_e32 v35, v25
	v_cvt_f64_f32_e32 v[21:22], v21
	v_cvt_f64_f32_e32 v[19:20], v19
	;; [unrolled: 1-line block ×3, first 2 shown]
	v_fma_f32 v62, v35, v12, -v11
	v_mul_f64 v[25:26], v[25:26], s[6:7]
	s_waitcnt vmcnt(3) lgkmcnt(0)
	v_mul_f32_e32 v27, v10, v16
	v_mul_f32_e32 v28, v10, v15
	v_mov_b32_e32 v36, v9
	s_waitcnt vmcnt(2)
	v_mad_u64_u32 v[9:10], null, s2, v33, 0
	s_waitcnt vmcnt(0)
	v_mad_u64_u32 v[23:24], null, s0, v37, 0
	v_fmac_f32_e32 v27, v36, v15
	v_fma_f32 v28, v36, v16, -v28
	v_mad_u64_u32 v[10:11], null, s3, v33, v[10:11]
	s_clause 0x1
	buffer_load_dword v33, off, s[20:23], 0 offset:136
	buffer_load_dword v34, off, s[20:23], 0 offset:140
	v_mov_b32_e32 v11, v24
	s_load_dwordx2 s[2:3], s[4:5], 0x38
	s_mul_i32 s4, s1, 0x1200
	s_mul_hi_u32 s5, s0, 0x1200
	v_mad_u64_u32 v[11:12], null, s1, v37, v[11:12]
	s_add_i32 s4, s5, s4
	s_mul_i32 s5, s0, 0x1200
	v_mov_b32_e32 v24, v11
	v_lshlrev_b64 v[23:24], 3, v[23:24]
	s_waitcnt vmcnt(0)
	v_mul_f32_e32 v15, v34, v13
	v_mul_f32_e32 v63, v34, v14
	v_fma_f32 v64, v33, v14, -v15
	v_mul_f64 v[15:16], v[21:22], s[6:7]
	v_cvt_f32_f64_e32 v21, v[0:1]
	v_lshlrev_b64 v[0:1], 3, v[9:10]
	ds_read2_b64 v[9:12], v111 offset0:64 offset1:160
	s_clause 0x1
	buffer_load_dword v36, off, s[20:23], 0 offset:128
	buffer_load_dword v37, off, s[20:23], 0 offset:132
	v_fmac_f32_e32 v63, v33, v13
	v_mul_f64 v[13:14], v[19:20], s[6:7]
	buffer_load_dword v41, off, s[20:23], 0 offset:300 ; 4-byte Folded Reload
	v_cvt_f64_f32_e32 v[19:20], v30
	v_cvt_f32_f64_e32 v22, v[17:18]
	v_cvt_f64_f32_e32 v[17:18], v27
	v_cvt_f64_f32_e32 v[27:28], v28
	;; [unrolled: 1-line block ×4, first 2 shown]
	s_waitcnt lgkmcnt(0)
	v_add_co_u32 v0, vcc_lo, s2, v0
	v_add_co_ci_u32_e32 v1, vcc_lo, s3, v1, vcc_lo
	s_mul_i32 s2, s1, 0x900
	v_add_co_u32 v23, vcc_lo, v0, v23
	s_mul_hi_u32 s3, s0, 0x900
	v_cvt_f32_f64_e32 v34, v[15:16]
	v_add_co_ci_u32_e32 v24, vcc_lo, v1, v24, vcc_lo
	s_add_i32 s2, s3, s2
	s_mul_i32 s3, s0, 0x900
	v_cvt_f32_f64_e32 v33, v[13:14]
	v_add_co_u32 v39, vcc_lo, v23, s3
	v_mul_f64 v[15:16], v[19:20], s[6:7]
	v_mul_f64 v[17:18], v[17:18], s[6:7]
	v_mul_f64 v[27:28], v[27:28], s[6:7]
	v_mul_f64 v[29:30], v[29:30], s[6:7]
	v_mul_f64 v[31:32], v[31:32], s[6:7]
	v_cvt_f32_f64_e32 v19, v[25:26]
	v_add_co_ci_u32_e32 v40, vcc_lo, s2, v24, vcc_lo
	v_cvt_f32_f64_e32 v17, v[17:18]
	v_cvt_f32_f64_e32 v18, v[27:28]
	;; [unrolled: 1-line block ×4, first 2 shown]
	s_waitcnt vmcnt(1)
	v_mul_f32_e32 v35, v37, v12
	v_mul_f32_e32 v13, v37, v11
	s_waitcnt vmcnt(0)
	v_mad_u64_u32 v[25:26], null, s0, v41, 0
	v_fmac_f32_e32 v35, v36, v11
	v_fma_f32 v37, v36, v12, -v13
	ds_read2_b64 v[11:14], v162 offset0:128 offset1:224
	s_clause 0x1
	buffer_load_dword v46, off, s[20:23], 0 offset:120
	buffer_load_dword v47, off, s[20:23], 0 offset:124
	v_cvt_f64_f32_e32 v[35:36], v35
	v_mov_b32_e32 v20, v26
	v_cvt_f64_f32_e32 v[37:38], v37
	v_mad_u64_u32 v[41:42], null, s1, v41, v[20:21]
	v_cvt_f32_f64_e32 v20, v[15:16]
	v_add_co_u32 v42, vcc_lo, v39, s3
	v_add_co_ci_u32_e32 v43, vcc_lo, s2, v40, vcc_lo
	v_mov_b32_e32 v26, v41
	v_add_co_u32 v52, vcc_lo, v42, s3
	v_add_co_ci_u32_e32 v53, vcc_lo, s2, v43, vcc_lo
	v_lshlrev_b64 v[25:26], 3, v[25:26]
	v_mul_f64 v[29:30], v[35:36], s[6:7]
	v_cvt_f64_f32_e32 v[35:36], v44
	v_mul_f64 v[31:32], v[37:38], s[6:7]
	v_add_co_u32 v25, vcc_lo, v0, v25
	v_add_co_ci_u32_e32 v26, vcc_lo, v1, v26, vcc_lo
	v_cvt_f64_f32_e32 v[37:38], v45
	s_waitcnt vmcnt(0) lgkmcnt(0)
	v_mul_f32_e32 v15, v47, v14
	v_mul_f32_e32 v16, v47, v13
	v_fmac_f32_e32 v15, v46, v13
	v_fma_f32 v13, v46, v14, -v16
	v_cvt_f64_f32_e32 v[44:45], v15
	v_cvt_f64_f32_e32 v[46:47], v13
	ds_read2_b64 v[13:16], v210 offset0:64 offset1:160
	global_store_dwordx2 v[23:24], v[21:22], off
	global_store_dwordx2 v[39:40], v[33:34], off
	;; [unrolled: 1-line block ×5, first 2 shown]
	v_mul_f64 v[19:20], v[35:36], s[6:7]
	s_clause 0x2
	buffer_load_dword v39, off, s[20:23], 0
	buffer_load_dword v35, off, s[20:23], 0 offset:96
	buffer_load_dword v36, off, s[20:23], 0 offset:100
	v_mul_f64 v[21:22], v[37:38], s[6:7]
	v_cvt_f32_f64_e32 v18, v[31:32]
	v_mul_f64 v[31:32], v[50:51], s[6:7]
	v_cvt_f32_f64_e32 v17, v[29:30]
	v_add_co_u32 v37, vcc_lo, v52, s5
	v_add_co_ci_u32_e32 v38, vcc_lo, s4, v53, vcc_lo
	v_mul_f64 v[27:28], v[48:49], s[6:7]
	v_cvt_f64_f32_e32 v[41:42], v61
	v_mul_f64 v[23:24], v[44:45], s[6:7]
	v_mul_f64 v[25:26], v[46:47], s[6:7]
	v_cvt_f32_f64_e32 v19, v[19:20]
	v_cvt_f32_f64_e32 v20, v[21:22]
	global_store_dwordx2 v[37:38], v[17:18], off
	v_cvt_f32_f64_e32 v21, v[23:24]
	v_cvt_f32_f64_e32 v22, v[25:26]
	v_add_co_u32 v25, vcc_lo, v37, s3
	v_add_co_ci_u32_e32 v26, vcc_lo, s2, v38, vcc_lo
	v_cvt_f32_f64_e32 v24, v[31:32]
	v_cvt_f32_f64_e32 v23, v[27:28]
	v_cvt_f64_f32_e32 v[37:38], v6
	global_store_dwordx2 v[25:26], v[19:20], off
	v_cvt_f64_f32_e32 v[19:20], v2
	s_waitcnt vmcnt(2)
	v_mad_u64_u32 v[29:30], null, s0, v39, 0
	s_waitcnt vmcnt(0) lgkmcnt(0)
	v_mul_f32_e32 v34, v36, v15
	v_mul_f32_e32 v33, v36, v16
	v_fma_f32 v16, v35, v16, -v34
	v_fmac_f32_e32 v33, v35, v15
	v_mov_b32_e32 v15, v30
	v_cvt_f64_f32_e32 v[35:36], v16
	v_cvt_f64_f32_e32 v[33:34], v33
	v_mad_u64_u32 v[15:16], null, s1, v39, v[15:16]
	v_cvt_f64_f32_e32 v[39:40], v58
	v_mov_b32_e32 v30, v15
	ds_read2_b64 v[15:18], v155 offset0:64 offset1:160
	v_lshlrev_b64 v[27:28], 3, v[29:30]
	v_mul_f64 v[31:32], v[35:36], s[6:7]
	v_add_co_u32 v35, vcc_lo, v25, s3
	v_add_co_ci_u32_e32 v36, vcc_lo, s2, v26, vcc_lo
	s_clause 0x1
	buffer_load_dword v25, off, s[20:23], 0 offset:104
	buffer_load_dword v26, off, s[20:23], 0 offset:108
	v_add_co_u32 v27, vcc_lo, v0, v27
	v_add_co_ci_u32_e32 v28, vcc_lo, v1, v28, vcc_lo
	global_store_dwordx2 v[35:36], v[21:22], off
	global_store_dwordx2 v[27:28], v[23:24], off
	buffer_load_dword v46, off, s[20:23], 0 offset:268 ; 4-byte Folded Reload
	v_mul_f64 v[29:30], v[33:34], s[6:7]
	v_cvt_f64_f32_e32 v[33:34], v4
	v_cvt_f64_f32_e32 v[4:5], v5
	v_cvt_f32_f64_e32 v24, v[31:32]
	v_mul_f64 v[31:32], v[41:42], s[6:7]
	v_cvt_f32_f64_e32 v23, v[29:30]
	v_mul_f64 v[27:28], v[33:34], s[6:7]
	v_add_co_u32 v33, vcc_lo, v35, s5
	v_add_co_ci_u32_e32 v34, vcc_lo, s4, v36, vcc_lo
	v_mul_f64 v[29:30], v[39:40], s[6:7]
	v_mul_f64 v[35:36], v[19:20], s[6:7]
	;; [unrolled: 1-line block ×3, first 2 shown]
	s_waitcnt vmcnt(1)
	v_mov_b32_e32 v21, v25
	v_mov_b32_e32 v22, v26
	s_waitcnt lgkmcnt(0)
	v_mul_f32_e32 v6, v26, v16
	v_mul_f32_e32 v2, v22, v15
	v_fmac_f32_e32 v6, v21, v15
	s_waitcnt vmcnt(0)
	v_mad_u64_u32 v[25:26], null, s0, v46, 0
	v_fma_f32 v43, v21, v16, -v2
	s_clause 0x1
	buffer_load_dword v21, off, s[20:23], 0 offset:112
	buffer_load_dword v22, off, s[20:23], 0 offset:116
	global_store_dwordx2 v[33:34], v[23:24], off
	v_mul_f64 v[15:16], v[37:38], s[6:7]
	v_mad_u64_u32 v[23:24], null, 0xffffb200, s0, v[33:34]
	v_cvt_f64_f32_e32 v[40:41], v43
	v_mov_b32_e32 v2, v26
	v_mad_u64_u32 v[37:38], null, s1, v46, v[2:3]
	v_cvt_f64_f32_e32 v[38:39], v6
	v_add_nc_u32_e32 v24, s8, v24
	s_mul_i32 s8, s1, 0xffffbb00
	s_sub_i32 s8, s8, s0
	v_mov_b32_e32 v26, v37
	v_mul_f64 v[33:34], v[38:39], s[6:7]
	s_waitcnt vmcnt(0)
	v_mul_f32_e32 v49, v22, v18
	v_mul_f32_e32 v44, v22, v17
	v_mov_b32_e32 v45, v21
	ds_read2_b64 v[19:22], v223 offset1:96
	s_clause 0x2
	buffer_load_dword v42, off, s[20:23], 0 offset:88
	buffer_load_dword v43, off, s[20:23], 0 offset:92
	;; [unrolled: 1-line block ×3, first 2 shown]
	v_fmac_f32_e32 v49, v45, v17
	v_fma_f32 v50, v45, v18, -v44
	v_cvt_f32_f64_e32 v17, v[27:28]
	v_cvt_f32_f64_e32 v18, v[15:16]
	;; [unrolled: 1-line block ×6, first 2 shown]
	v_lshlrev_b64 v[15:16], 3, v[25:26]
	v_cvt_f64_f32_e32 v[25:26], v3
	v_cvt_f64_f32_e32 v[31:32], v8
	v_mul_f64 v[35:36], v[40:41], s[6:7]
	global_store_dwordx2 v[23:24], v[17:18], off
	s_waitcnt vmcnt(1) lgkmcnt(0)
	v_mul_f32_e32 v6, v43, v20
	v_mul_f32_e32 v2, v43, v19
	s_waitcnt vmcnt(0)
	v_mad_u64_u32 v[43:44], null, s0, v46, 0
	v_fmac_f32_e32 v6, v42, v19
	v_fma_f32 v8, v42, v20, -v2
	v_cvt_f64_f32_e32 v[41:42], v54
	v_add_co_u32 v19, vcc_lo, v0, v15
	v_add_co_ci_u32_e32 v20, vcc_lo, v1, v16, vcc_lo
	v_add_co_u32 v23, vcc_lo, v23, s5
	v_add_co_ci_u32_e32 v24, vcc_lo, s4, v24, vcc_lo
	global_store_dwordx2 v[19:20], v[27:28], off
	ds_read2_b64 v[2:5], v114 offset0:64 offset1:160
	ds_read2_b64 v[15:18], v226 offset0:128 offset1:224
	global_store_dwordx2 v[23:24], v[29:30], off
	v_mul_f64 v[19:20], v[25:26], s[6:7]
	v_mul_f64 v[25:26], v[31:32], s[6:7]
	s_clause 0x1
	buffer_load_dword v30, off, s[20:23], 0 offset:80
	buffer_load_dword v31, off, s[20:23], 0 offset:84
	v_cvt_f32_f64_e32 v27, v[33:34]
	v_cvt_f64_f32_e32 v[37:38], v6
	v_cvt_f64_f32_e32 v[39:40], v8
	;; [unrolled: 1-line block ×3, first 2 shown]
	v_mov_b32_e32 v8, v44
	v_cvt_f32_f64_e32 v28, v[35:36]
	v_mul_f64 v[33:34], v[41:42], s[6:7]
	s_clause 0x1
	buffer_load_dword v41, off, s[20:23], 0 offset:72
	buffer_load_dword v42, off, s[20:23], 0 offset:76
	v_add_co_u32 v23, vcc_lo, v23, s3
	v_add_co_ci_u32_e32 v24, vcc_lo, s2, v24, vcc_lo
	buffer_load_dword v51, off, s[20:23], 0 offset:16 ; 4-byte Folded Reload
	v_cvt_f32_f64_e32 v19, v[19:20]
	v_cvt_f32_f64_e32 v20, v[25:26]
	v_mul_f64 v[6:7], v[6:7], s[6:7]
	global_store_dwordx2 v[23:24], v[27:28], off
	v_cvt_f32_f64_e32 v6, v[6:7]
	v_cvt_f32_f64_e32 v7, v[33:34]
	s_waitcnt vmcnt(3) lgkmcnt(1)
	v_mul_f32_e32 v45, v31, v3
	v_mul_f32_e32 v29, v31, v2
	v_mul_f64 v[31:32], v[39:40], s[6:7]
	v_cvt_f64_f32_e32 v[39:40], v55
	v_fmac_f32_e32 v45, v30, v2
	v_fma_f32 v44, v30, v3, -v29
	v_mad_u64_u32 v[2:3], null, s1, v46, v[8:9]
	s_waitcnt vmcnt(1) lgkmcnt(0)
	v_mul_f32_e32 v3, v42, v16
	v_mul_f64 v[29:30], v[37:38], s[6:7]
	v_cvt_f64_f32_e32 v[35:36], v45
	v_cvt_f64_f32_e32 v[37:38], v44
	v_mul_f32_e32 v8, v42, v15
	v_fmac_f32_e32 v3, v41, v15
	v_mov_b32_e32 v15, v41
	v_cvt_f64_f32_e32 v[41:42], v56
	v_mov_b32_e32 v44, v2
	s_waitcnt vmcnt(0)
	v_mad_u64_u32 v[47:48], null, s0, v51, 0
	v_fma_f32 v8, v15, v16, -v8
	v_add_co_u32 v15, vcc_lo, v23, s3
	v_add_co_ci_u32_e32 v16, vcc_lo, s2, v24, vcc_lo
	v_cvt_f32_f64_e32 v26, v[31:32]
	v_lshlrev_b64 v[31:32], 3, v[43:44]
	v_cvt_f64_f32_e32 v[43:44], v60
	v_cvt_f64_f32_e32 v[2:3], v3
	v_cvt_f32_f64_e32 v25, v[29:30]
	v_mul_f64 v[33:34], v[35:36], s[6:7]
	v_mul_f64 v[35:36], v[37:38], s[6:7]
	v_mul_f64 v[37:38], v[39:40], s[6:7]
	v_add_co_u32 v31, vcc_lo, v0, v31
	v_mul_f64 v[39:40], v[41:42], s[6:7]
	v_cvt_f64_f32_e32 v[41:42], v57
	v_add_co_ci_u32_e32 v32, vcc_lo, v1, v32, vcc_lo
	v_add_co_u32 v45, vcc_lo, v15, s5
	v_add_co_ci_u32_e32 v46, vcc_lo, s4, v16, vcc_lo
	global_store_dwordx2 v[15:16], v[19:20], off
	global_store_dwordx2 v[31:32], v[25:26], off
	;; [unrolled: 1-line block ×3, first 2 shown]
	v_mul_f64 v[27:28], v[43:44], s[6:7]
	v_cvt_f64_f32_e32 v[29:30], v8
	v_mul_f64 v[2:3], v[2:3], s[6:7]
	v_cvt_f32_f64_e32 v6, v[33:34]
	v_cvt_f64_f32_e32 v[31:32], v59
	v_cvt_f64_f32_e32 v[33:34], v62
	v_mov_b32_e32 v8, v48
	v_mul_f64 v[25:26], v[41:42], s[6:7]
	s_clause 0x2
	buffer_load_dword v41, off, s[20:23], 0 offset:64
	buffer_load_dword v42, off, s[20:23], 0 offset:68
	;; [unrolled: 1-line block ×3, first 2 shown]
	v_add_co_u32 v15, vcc_lo, v45, s3
	v_mad_u64_u32 v[19:20], null, s1, v51, v[8:9]
	v_cvt_f32_f64_e32 v7, v[35:36]
	v_add_co_ci_u32_e32 v16, vcc_lo, s2, v46, vcc_lo
	v_add_co_u32 v35, vcc_lo, v15, s3
	v_mov_b32_e32 v48, v19
	v_add_co_ci_u32_e32 v36, vcc_lo, s2, v16, vcc_lo
	v_mul_f64 v[23:24], v[29:30], s[6:7]
	v_cvt_f32_f64_e32 v2, v[2:3]
	v_cvt_f32_f64_e32 v29, v[37:38]
	;; [unrolled: 1-line block ×3, first 2 shown]
	v_mul_f64 v[31:32], v[31:32], s[6:7]
	v_mul_f64 v[33:34], v[33:34], s[6:7]
	v_cvt_f32_f64_e32 v25, v[25:26]
	v_cvt_f32_f64_e32 v26, v[27:28]
	v_lshlrev_b64 v[37:38], 3, v[47:48]
	global_store_dwordx2 v[15:16], v[6:7], off
	global_store_dwordx2 v[35:36], v[29:30], off
	v_cvt_f32_f64_e32 v3, v[23:24]
	v_add_co_u32 v37, vcc_lo, v0, v37
	v_add_co_ci_u32_e32 v38, vcc_lo, v1, v38, vcc_lo
	v_cvt_f64_f32_e32 v[19:20], v63
	v_cvt_f64_f32_e32 v[23:24], v64
	;; [unrolled: 1-line block ×3, first 2 shown]
	v_mul_f64 v[19:20], v[19:20], s[6:7]
	v_mul_f64 v[23:24], v[23:24], s[6:7]
	;; [unrolled: 1-line block ×3, first 2 shown]
	v_cvt_f32_f64_e32 v19, v[19:20]
	v_cvt_f32_f64_e32 v20, v[23:24]
	;; [unrolled: 1-line block ×3, first 2 shown]
	s_waitcnt vmcnt(1)
	v_mul_f32_e32 v8, v42, v9
	s_waitcnt vmcnt(0)
	v_mad_u64_u32 v[27:28], null, s0, v43, 0
	v_mul_f32_e32 v45, v42, v10
	v_fma_f32 v46, v41, v10, -v8
	v_fmac_f32_e32 v45, v41, v9
	v_mov_b32_e32 v10, v28
	v_mad_u64_u32 v[41:42], null, 0xffffbb00, s0, v[35:36]
	v_cvt_f64_f32_e32 v[8:9], v50
	v_cvt_f64_f32_e32 v[46:47], v46
	v_mad_u64_u32 v[43:44], null, s1, v43, v[10:11]
	v_cvt_f64_f32_e32 v[44:45], v45
	v_add_nc_u32_e32 v42, s8, v42
	global_store_dwordx2 v[37:38], v[2:3], off
	global_store_dwordx2 v[41:42], v[25:26], off
	v_mov_b32_e32 v28, v43
	v_cvt_f32_f64_e32 v2, v[31:32]
	v_cvt_f32_f64_e32 v3, v[33:34]
	v_add_co_u32 v15, vcc_lo, v41, s3
	v_lshlrev_b64 v[6:7], 3, v[27:28]
	s_clause 0x5
	buffer_load_dword v28, off, s[20:23], 0 offset:56
	buffer_load_dword v29, off, s[20:23], 0 offset:60
	;; [unrolled: 1-line block ×6, first 2 shown]
	v_add_co_ci_u32_e32 v16, vcc_lo, s2, v42, vcc_lo
	v_mul_f64 v[8:9], v[8:9], s[6:7]
	v_mul_f64 v[25:26], v[46:47], s[6:7]
	v_add_co_u32 v6, vcc_lo, v0, v6
	v_add_co_ci_u32_e32 v7, vcc_lo, v1, v7, vcc_lo
	v_cvt_f32_f64_e32 v24, v[8:9]
	v_mul_f64 v[8:9], v[44:45], s[6:7]
	v_cvt_f32_f64_e32 v8, v[8:9]
	v_cvt_f32_f64_e32 v9, v[25:26]
	v_add_co_u32 v25, vcc_lo, v15, s5
	v_add_co_ci_u32_e32 v26, vcc_lo, s4, v16, vcc_lo
	s_waitcnt vmcnt(4)
	v_mul_f32_e32 v10, v29, v22
	v_mul_f32_e32 v27, v29, v21
	v_mov_b32_e32 v32, v28
	s_waitcnt vmcnt(2)
	v_mul_f32_e32 v28, v31, v12
	v_mul_f32_e32 v29, v31, v11
	s_waitcnt vmcnt(0)
	v_mul_f32_e32 v31, v34, v5
	v_mov_b32_e32 v36, v33
	v_fmac_f32_e32 v10, v32, v21
	v_fmac_f32_e32 v28, v30, v11
	v_fma_f32 v12, v30, v12, -v29
	v_fmac_f32_e32 v31, v33, v4
	v_mul_f32_e32 v4, v34, v4
	s_clause 0x3
	buffer_load_dword v34, off, s[20:23], 0 offset:36
	buffer_load_dword v35, off, s[20:23], 0 offset:40
	;; [unrolled: 1-line block ×4, first 2 shown]
	v_cvt_f64_f32_e32 v[29:30], v12
	v_fma_f32 v21, v32, v22, -v27
	v_fma_f32 v4, v36, v5, -v4
	v_cvt_f64_f32_e32 v[10:11], v10
	v_cvt_f64_f32_e32 v[27:28], v28
	;; [unrolled: 1-line block ×5, first 2 shown]
	v_mul_f64 v[29:30], v[29:30], s[6:7]
	v_mul_f64 v[10:11], v[10:11], s[6:7]
	;; [unrolled: 1-line block ×6, first 2 shown]
	s_waitcnt vmcnt(2)
	v_mul_f32_e32 v33, v35, v13
	v_mov_b32_e32 v39, v34
	v_mul_f32_e32 v12, v35, v14
	s_waitcnt vmcnt(0)
	v_mul_f32_e32 v34, v38, v18
	v_mul_f32_e32 v35, v38, v17
	v_fma_f32 v14, v39, v14, -v33
	v_fmac_f32_e32 v12, v39, v13
	v_fmac_f32_e32 v34, v37, v17
	v_fma_f32 v35, v37, v18, -v35
	v_add_co_u32 v37, vcc_lo, v25, s3
	v_cvt_f64_f32_e32 v[17:18], v14
	buffer_load_dword v14, off, s[20:23], 0 offset:4 ; 4-byte Folded Reload
	v_cvt_f64_f32_e32 v[12:13], v12
	v_cvt_f64_f32_e32 v[33:34], v34
	v_cvt_f64_f32_e32 v[35:36], v35
	global_store_dwordx2 v[15:16], v[2:3], off
	global_store_dwordx2 v[6:7], v[19:20], off
	v_add_co_ci_u32_e32 v38, vcc_lo, s2, v26, vcc_lo
	v_cvt_f32_f64_e32 v6, v[10:11]
	v_cvt_f32_f64_e32 v7, v[21:22]
	;; [unrolled: 1-line block ×4, first 2 shown]
	global_store_dwordx2 v[25:26], v[23:24], off
	global_store_dwordx2 v[37:38], v[8:9], off
	v_add_co_u32 v8, vcc_lo, v37, s3
	v_add_co_ci_u32_e32 v9, vcc_lo, s2, v38, vcc_lo
	v_mul_f64 v[17:18], v[17:18], s[6:7]
	v_mul_f64 v[12:13], v[12:13], s[6:7]
	;; [unrolled: 1-line block ×4, first 2 shown]
	s_waitcnt vmcnt(0)
	v_mad_u64_u32 v[39:40], null, s0, v14, 0
	v_mov_b32_e32 v2, v40
	v_mad_u64_u32 v[2:3], null, s1, v14, v[2:3]
	v_cvt_f32_f64_e32 v3, v[4:5]
	v_cvt_f32_f64_e32 v4, v[12:13]
	;; [unrolled: 1-line block ×5, first 2 shown]
	v_add_co_u32 v14, vcc_lo, v8, s5
	v_mov_b32_e32 v40, v2
	v_cvt_f32_f64_e32 v2, v[31:32]
	v_add_co_ci_u32_e32 v15, vcc_lo, s4, v9, vcc_lo
	v_add_co_u32 v18, vcc_lo, v14, s3
	v_lshlrev_b64 v[16:17], 3, v[39:40]
	v_add_co_ci_u32_e32 v19, vcc_lo, s2, v15, vcc_lo
	v_add_co_u32 v0, vcc_lo, v0, v16
	v_add_co_ci_u32_e32 v1, vcc_lo, v1, v17, vcc_lo
	v_add_co_u32 v16, vcc_lo, v18, s3
	v_add_co_ci_u32_e32 v17, vcc_lo, s2, v19, vcc_lo
	global_store_dwordx2 v[8:9], v[6:7], off
	global_store_dwordx2 v[0:1], v[10:11], off
	;; [unrolled: 1-line block ×5, first 2 shown]
.LBB0_2:
	s_endpgm
	.section	.rodata,"a",@progbits
	.p2align	6, 0x0
	.amdhsa_kernel bluestein_single_fwd_len2880_dim1_sp_op_CI_CI
		.amdhsa_group_segment_fixed_size 23040
		.amdhsa_private_segment_fixed_size 564
		.amdhsa_kernarg_size 104
		.amdhsa_user_sgpr_count 6
		.amdhsa_user_sgpr_private_segment_buffer 1
		.amdhsa_user_sgpr_dispatch_ptr 0
		.amdhsa_user_sgpr_queue_ptr 0
		.amdhsa_user_sgpr_kernarg_segment_ptr 1
		.amdhsa_user_sgpr_dispatch_id 0
		.amdhsa_user_sgpr_flat_scratch_init 0
		.amdhsa_user_sgpr_private_segment_size 0
		.amdhsa_wavefront_size32 1
		.amdhsa_uses_dynamic_stack 0
		.amdhsa_system_sgpr_private_segment_wavefront_offset 1
		.amdhsa_system_sgpr_workgroup_id_x 1
		.amdhsa_system_sgpr_workgroup_id_y 0
		.amdhsa_system_sgpr_workgroup_id_z 0
		.amdhsa_system_sgpr_workgroup_info 0
		.amdhsa_system_vgpr_workitem_id 0
		.amdhsa_next_free_vgpr 256
		.amdhsa_next_free_sgpr 24
		.amdhsa_reserve_vcc 1
		.amdhsa_reserve_flat_scratch 0
		.amdhsa_float_round_mode_32 0
		.amdhsa_float_round_mode_16_64 0
		.amdhsa_float_denorm_mode_32 3
		.amdhsa_float_denorm_mode_16_64 3
		.amdhsa_dx10_clamp 1
		.amdhsa_ieee_mode 1
		.amdhsa_fp16_overflow 0
		.amdhsa_workgroup_processor_mode 1
		.amdhsa_memory_ordered 1
		.amdhsa_forward_progress 0
		.amdhsa_shared_vgpr_count 0
		.amdhsa_exception_fp_ieee_invalid_op 0
		.amdhsa_exception_fp_denorm_src 0
		.amdhsa_exception_fp_ieee_div_zero 0
		.amdhsa_exception_fp_ieee_overflow 0
		.amdhsa_exception_fp_ieee_underflow 0
		.amdhsa_exception_fp_ieee_inexact 0
		.amdhsa_exception_int_div_zero 0
	.end_amdhsa_kernel
	.text
.Lfunc_end0:
	.size	bluestein_single_fwd_len2880_dim1_sp_op_CI_CI, .Lfunc_end0-bluestein_single_fwd_len2880_dim1_sp_op_CI_CI
                                        ; -- End function
	.section	.AMDGPU.csdata,"",@progbits
; Kernel info:
; codeLenInByte = 32752
; NumSgprs: 26
; NumVgprs: 256
; ScratchSize: 564
; MemoryBound: 0
; FloatMode: 240
; IeeeMode: 1
; LDSByteSize: 23040 bytes/workgroup (compile time only)
; SGPRBlocks: 3
; VGPRBlocks: 31
; NumSGPRsForWavesPerEU: 26
; NumVGPRsForWavesPerEU: 256
; Occupancy: 4
; WaveLimiterHint : 1
; COMPUTE_PGM_RSRC2:SCRATCH_EN: 1
; COMPUTE_PGM_RSRC2:USER_SGPR: 6
; COMPUTE_PGM_RSRC2:TRAP_HANDLER: 0
; COMPUTE_PGM_RSRC2:TGID_X_EN: 1
; COMPUTE_PGM_RSRC2:TGID_Y_EN: 0
; COMPUTE_PGM_RSRC2:TGID_Z_EN: 0
; COMPUTE_PGM_RSRC2:TIDIG_COMP_CNT: 0
	.text
	.p2alignl 6, 3214868480
	.fill 48, 4, 3214868480
	.type	__hip_cuid_21e69a4d0e745119,@object ; @__hip_cuid_21e69a4d0e745119
	.section	.bss,"aw",@nobits
	.globl	__hip_cuid_21e69a4d0e745119
__hip_cuid_21e69a4d0e745119:
	.byte	0                               ; 0x0
	.size	__hip_cuid_21e69a4d0e745119, 1

	.ident	"AMD clang version 19.0.0git (https://github.com/RadeonOpenCompute/llvm-project roc-6.4.0 25133 c7fe45cf4b819c5991fe208aaa96edf142730f1d)"
	.section	".note.GNU-stack","",@progbits
	.addrsig
	.addrsig_sym __hip_cuid_21e69a4d0e745119
	.amdgpu_metadata
---
amdhsa.kernels:
  - .args:
      - .actual_access:  read_only
        .address_space:  global
        .offset:         0
        .size:           8
        .value_kind:     global_buffer
      - .actual_access:  read_only
        .address_space:  global
        .offset:         8
        .size:           8
        .value_kind:     global_buffer
      - .actual_access:  read_only
        .address_space:  global
        .offset:         16
        .size:           8
        .value_kind:     global_buffer
      - .actual_access:  read_only
        .address_space:  global
        .offset:         24
        .size:           8
        .value_kind:     global_buffer
      - .actual_access:  read_only
        .address_space:  global
        .offset:         32
        .size:           8
        .value_kind:     global_buffer
      - .offset:         40
        .size:           8
        .value_kind:     by_value
      - .address_space:  global
        .offset:         48
        .size:           8
        .value_kind:     global_buffer
      - .address_space:  global
        .offset:         56
        .size:           8
        .value_kind:     global_buffer
      - .address_space:  global
        .offset:         64
        .size:           8
        .value_kind:     global_buffer
      - .address_space:  global
        .offset:         72
        .size:           8
        .value_kind:     global_buffer
      - .offset:         80
        .size:           4
        .value_kind:     by_value
      - .address_space:  global
        .offset:         88
        .size:           8
        .value_kind:     global_buffer
      - .address_space:  global
        .offset:         96
        .size:           8
        .value_kind:     global_buffer
    .group_segment_fixed_size: 23040
    .kernarg_segment_align: 8
    .kernarg_segment_size: 104
    .language:       OpenCL C
    .language_version:
      - 2
      - 0
    .max_flat_workgroup_size: 96
    .name:           bluestein_single_fwd_len2880_dim1_sp_op_CI_CI
    .private_segment_fixed_size: 564
    .sgpr_count:     26
    .sgpr_spill_count: 0
    .symbol:         bluestein_single_fwd_len2880_dim1_sp_op_CI_CI.kd
    .uniform_work_group_size: 1
    .uses_dynamic_stack: false
    .vgpr_count:     256
    .vgpr_spill_count: 140
    .wavefront_size: 32
    .workgroup_processor_mode: 1
amdhsa.target:   amdgcn-amd-amdhsa--gfx1030
amdhsa.version:
  - 1
  - 2
...

	.end_amdgpu_metadata
